;; amdgpu-corpus repo=ROCm/rocFFT kind=compiled arch=gfx906 opt=O3
	.text
	.amdgcn_target "amdgcn-amd-amdhsa--gfx906"
	.amdhsa_code_object_version 6
	.protected	fft_rtc_back_len1440_factors_10_16_3_3_wgs_90_tpt_90_halfLds_half_ip_CI_unitstride_sbrr_C2R_dirReg ; -- Begin function fft_rtc_back_len1440_factors_10_16_3_3_wgs_90_tpt_90_halfLds_half_ip_CI_unitstride_sbrr_C2R_dirReg
	.globl	fft_rtc_back_len1440_factors_10_16_3_3_wgs_90_tpt_90_halfLds_half_ip_CI_unitstride_sbrr_C2R_dirReg
	.p2align	8
	.type	fft_rtc_back_len1440_factors_10_16_3_3_wgs_90_tpt_90_halfLds_half_ip_CI_unitstride_sbrr_C2R_dirReg,@function
fft_rtc_back_len1440_factors_10_16_3_3_wgs_90_tpt_90_halfLds_half_ip_CI_unitstride_sbrr_C2R_dirReg: ; @fft_rtc_back_len1440_factors_10_16_3_3_wgs_90_tpt_90_halfLds_half_ip_CI_unitstride_sbrr_C2R_dirReg
; %bb.0:
	s_load_dwordx2 s[12:13], s[4:5], 0x50
	s_load_dwordx4 s[8:11], s[4:5], 0x0
	s_load_dwordx2 s[2:3], s[4:5], 0x18
	v_mul_u32_u24_e32 v1, 0x2d9, v0
	v_add_u32_sdwa v5, s6, v1 dst_sel:DWORD dst_unused:UNUSED_PAD src0_sel:DWORD src1_sel:WORD_1
	v_mov_b32_e32 v3, 0
	s_waitcnt lgkmcnt(0)
	v_cmp_lt_u64_e64 s[0:1], s[10:11], 2
	v_mov_b32_e32 v1, 0
	v_mov_b32_e32 v6, v3
	s_and_b64 vcc, exec, s[0:1]
	v_mov_b32_e32 v2, 0
	s_cbranch_vccnz .LBB0_8
; %bb.1:
	s_load_dwordx2 s[0:1], s[4:5], 0x10
	s_add_u32 s6, s2, 8
	s_addc_u32 s7, s3, 0
	v_mov_b32_e32 v1, 0
	v_mov_b32_e32 v2, 0
	s_waitcnt lgkmcnt(0)
	s_add_u32 s14, s0, 8
	s_addc_u32 s15, s1, 0
	s_mov_b64 s[16:17], 1
.LBB0_2:                                ; =>This Inner Loop Header: Depth=1
	s_load_dwordx2 s[18:19], s[14:15], 0x0
                                        ; implicit-def: $vgpr7_vgpr8
	s_waitcnt lgkmcnt(0)
	v_or_b32_e32 v4, s19, v6
	v_cmp_ne_u64_e32 vcc, 0, v[3:4]
	s_and_saveexec_b64 s[0:1], vcc
	s_xor_b64 s[20:21], exec, s[0:1]
	s_cbranch_execz .LBB0_4
; %bb.3:                                ;   in Loop: Header=BB0_2 Depth=1
	v_cvt_f32_u32_e32 v4, s18
	v_cvt_f32_u32_e32 v7, s19
	s_sub_u32 s0, 0, s18
	s_subb_u32 s1, 0, s19
	v_mac_f32_e32 v4, 0x4f800000, v7
	v_rcp_f32_e32 v4, v4
	v_mul_f32_e32 v4, 0x5f7ffffc, v4
	v_mul_f32_e32 v7, 0x2f800000, v4
	v_trunc_f32_e32 v7, v7
	v_mac_f32_e32 v4, 0xcf800000, v7
	v_cvt_u32_f32_e32 v7, v7
	v_cvt_u32_f32_e32 v4, v4
	v_mul_lo_u32 v8, s0, v7
	v_mul_hi_u32 v9, s0, v4
	v_mul_lo_u32 v11, s1, v4
	v_mul_lo_u32 v10, s0, v4
	v_add_u32_e32 v8, v9, v8
	v_add_u32_e32 v8, v8, v11
	v_mul_hi_u32 v9, v4, v10
	v_mul_lo_u32 v11, v4, v8
	v_mul_hi_u32 v13, v4, v8
	v_mul_hi_u32 v12, v7, v10
	v_mul_lo_u32 v10, v7, v10
	v_mul_hi_u32 v14, v7, v8
	v_add_co_u32_e32 v9, vcc, v9, v11
	v_addc_co_u32_e32 v11, vcc, 0, v13, vcc
	v_mul_lo_u32 v8, v7, v8
	v_add_co_u32_e32 v9, vcc, v9, v10
	v_addc_co_u32_e32 v9, vcc, v11, v12, vcc
	v_addc_co_u32_e32 v10, vcc, 0, v14, vcc
	v_add_co_u32_e32 v8, vcc, v9, v8
	v_addc_co_u32_e32 v9, vcc, 0, v10, vcc
	v_add_co_u32_e32 v4, vcc, v4, v8
	v_addc_co_u32_e32 v7, vcc, v7, v9, vcc
	v_mul_lo_u32 v8, s0, v7
	v_mul_hi_u32 v9, s0, v4
	v_mul_lo_u32 v10, s1, v4
	v_mul_lo_u32 v11, s0, v4
	v_add_u32_e32 v8, v9, v8
	v_add_u32_e32 v8, v8, v10
	v_mul_lo_u32 v12, v4, v8
	v_mul_hi_u32 v13, v4, v11
	v_mul_hi_u32 v14, v4, v8
	;; [unrolled: 1-line block ×3, first 2 shown]
	v_mul_lo_u32 v11, v7, v11
	v_mul_hi_u32 v9, v7, v8
	v_add_co_u32_e32 v12, vcc, v13, v12
	v_addc_co_u32_e32 v13, vcc, 0, v14, vcc
	v_mul_lo_u32 v8, v7, v8
	v_add_co_u32_e32 v11, vcc, v12, v11
	v_addc_co_u32_e32 v10, vcc, v13, v10, vcc
	v_addc_co_u32_e32 v9, vcc, 0, v9, vcc
	v_add_co_u32_e32 v8, vcc, v10, v8
	v_addc_co_u32_e32 v9, vcc, 0, v9, vcc
	v_add_co_u32_e32 v4, vcc, v4, v8
	v_addc_co_u32_e32 v9, vcc, v7, v9, vcc
	v_mad_u64_u32 v[7:8], s[0:1], v5, v9, 0
	v_mul_hi_u32 v10, v5, v4
	v_add_co_u32_e32 v11, vcc, v10, v7
	v_addc_co_u32_e32 v12, vcc, 0, v8, vcc
	v_mad_u64_u32 v[7:8], s[0:1], v6, v4, 0
	v_mad_u64_u32 v[9:10], s[0:1], v6, v9, 0
	v_add_co_u32_e32 v4, vcc, v11, v7
	v_addc_co_u32_e32 v4, vcc, v12, v8, vcc
	v_addc_co_u32_e32 v7, vcc, 0, v10, vcc
	v_add_co_u32_e32 v4, vcc, v4, v9
	v_addc_co_u32_e32 v9, vcc, 0, v7, vcc
	v_mul_lo_u32 v10, s19, v4
	v_mul_lo_u32 v11, s18, v9
	v_mad_u64_u32 v[7:8], s[0:1], s18, v4, 0
	v_add3_u32 v8, v8, v11, v10
	v_sub_u32_e32 v10, v6, v8
	v_mov_b32_e32 v11, s19
	v_sub_co_u32_e32 v7, vcc, v5, v7
	v_subb_co_u32_e64 v10, s[0:1], v10, v11, vcc
	v_subrev_co_u32_e64 v11, s[0:1], s18, v7
	v_subbrev_co_u32_e64 v10, s[0:1], 0, v10, s[0:1]
	v_cmp_le_u32_e64 s[0:1], s19, v10
	v_cndmask_b32_e64 v12, 0, -1, s[0:1]
	v_cmp_le_u32_e64 s[0:1], s18, v11
	v_cndmask_b32_e64 v11, 0, -1, s[0:1]
	v_cmp_eq_u32_e64 s[0:1], s19, v10
	v_cndmask_b32_e64 v10, v12, v11, s[0:1]
	v_add_co_u32_e64 v11, s[0:1], 2, v4
	v_addc_co_u32_e64 v12, s[0:1], 0, v9, s[0:1]
	v_add_co_u32_e64 v13, s[0:1], 1, v4
	v_addc_co_u32_e64 v14, s[0:1], 0, v9, s[0:1]
	v_subb_co_u32_e32 v8, vcc, v6, v8, vcc
	v_cmp_ne_u32_e64 s[0:1], 0, v10
	v_cmp_le_u32_e32 vcc, s19, v8
	v_cndmask_b32_e64 v10, v14, v12, s[0:1]
	v_cndmask_b32_e64 v12, 0, -1, vcc
	v_cmp_le_u32_e32 vcc, s18, v7
	v_cndmask_b32_e64 v7, 0, -1, vcc
	v_cmp_eq_u32_e32 vcc, s19, v8
	v_cndmask_b32_e32 v7, v12, v7, vcc
	v_cmp_ne_u32_e32 vcc, 0, v7
	v_cndmask_b32_e64 v7, v13, v11, s[0:1]
	v_cndmask_b32_e32 v8, v9, v10, vcc
	v_cndmask_b32_e32 v7, v4, v7, vcc
.LBB0_4:                                ;   in Loop: Header=BB0_2 Depth=1
	s_andn2_saveexec_b64 s[0:1], s[20:21]
	s_cbranch_execz .LBB0_6
; %bb.5:                                ;   in Loop: Header=BB0_2 Depth=1
	v_cvt_f32_u32_e32 v4, s18
	s_sub_i32 s20, 0, s18
	v_rcp_iflag_f32_e32 v4, v4
	v_mul_f32_e32 v4, 0x4f7ffffe, v4
	v_cvt_u32_f32_e32 v4, v4
	v_mul_lo_u32 v7, s20, v4
	v_mul_hi_u32 v7, v4, v7
	v_add_u32_e32 v4, v4, v7
	v_mul_hi_u32 v4, v5, v4
	v_mul_lo_u32 v7, v4, s18
	v_add_u32_e32 v8, 1, v4
	v_sub_u32_e32 v7, v5, v7
	v_subrev_u32_e32 v9, s18, v7
	v_cmp_le_u32_e32 vcc, s18, v7
	v_cndmask_b32_e32 v7, v7, v9, vcc
	v_cndmask_b32_e32 v4, v4, v8, vcc
	v_add_u32_e32 v8, 1, v4
	v_cmp_le_u32_e32 vcc, s18, v7
	v_cndmask_b32_e32 v7, v4, v8, vcc
	v_mov_b32_e32 v8, v3
.LBB0_6:                                ;   in Loop: Header=BB0_2 Depth=1
	s_or_b64 exec, exec, s[0:1]
	v_mul_lo_u32 v4, v8, s18
	v_mul_lo_u32 v11, v7, s19
	v_mad_u64_u32 v[9:10], s[0:1], v7, s18, 0
	s_load_dwordx2 s[0:1], s[6:7], 0x0
	s_add_u32 s16, s16, 1
	v_add3_u32 v4, v10, v11, v4
	v_sub_co_u32_e32 v5, vcc, v5, v9
	v_subb_co_u32_e32 v4, vcc, v6, v4, vcc
	s_waitcnt lgkmcnt(0)
	v_mul_lo_u32 v4, s0, v4
	v_mul_lo_u32 v6, s1, v5
	v_mad_u64_u32 v[1:2], s[0:1], s0, v5, v[1:2]
	s_addc_u32 s17, s17, 0
	s_add_u32 s6, s6, 8
	v_add3_u32 v2, v6, v2, v4
	v_mov_b32_e32 v4, s10
	v_mov_b32_e32 v5, s11
	s_addc_u32 s7, s7, 0
	v_cmp_ge_u64_e32 vcc, s[16:17], v[4:5]
	s_add_u32 s14, s14, 8
	s_addc_u32 s15, s15, 0
	s_cbranch_vccnz .LBB0_9
; %bb.7:                                ;   in Loop: Header=BB0_2 Depth=1
	v_mov_b32_e32 v5, v7
	v_mov_b32_e32 v6, v8
	s_branch .LBB0_2
.LBB0_8:
	v_mov_b32_e32 v8, v6
	v_mov_b32_e32 v7, v5
.LBB0_9:
	s_lshl_b64 s[0:1], s[10:11], 3
	s_add_u32 s0, s2, s0
	s_addc_u32 s1, s3, s1
	s_load_dwordx2 s[2:3], s[0:1], 0x0
	s_load_dwordx2 s[6:7], s[4:5], 0x20
	s_waitcnt lgkmcnt(0)
	v_mad_u64_u32 v[1:2], s[0:1], s2, v7, v[1:2]
	v_mul_lo_u32 v3, s2, v8
	v_mul_lo_u32 v4, s3, v7
	s_mov_b32 s0, 0x2d82d83
	v_mul_hi_u32 v5, v0, s0
	v_cmp_gt_u64_e64 s[0:1], s[6:7], v[7:8]
	v_add3_u32 v2, v4, v2, v3
	v_lshlrev_b64 v[2:3], 2, v[1:2]
	v_mul_u32_u24_e32 v4, 0x5a, v5
	v_sub_u32_e32 v0, v0, v4
	s_and_saveexec_b64 s[2:3], s[0:1]
	s_cbranch_execz .LBB0_13
; %bb.10:
	v_mov_b32_e32 v1, 0
	v_mov_b32_e32 v4, s13
	v_add_co_u32_e32 v5, vcc, s12, v2
	v_lshlrev_b64 v[6:7], 2, v[0:1]
	v_addc_co_u32_e32 v4, vcc, v4, v3, vcc
	v_add_co_u32_e32 v6, vcc, v5, v6
	v_addc_co_u32_e32 v7, vcc, v4, v7, vcc
	s_movk_i32 s4, 0x1000
	v_add_co_u32_e32 v8, vcc, s4, v6
	global_load_dword v10, v[6:7], off
	global_load_dword v11, v[6:7], off offset:360
	global_load_dword v12, v[6:7], off offset:720
	;; [unrolled: 1-line block ×7, first 2 shown]
	v_addc_co_u32_e32 v9, vcc, 0, v7, vcc
	global_load_dword v18, v[6:7], off offset:2880
	global_load_dword v19, v[6:7], off offset:3240
	;; [unrolled: 1-line block ×8, first 2 shown]
	s_movk_i32 s4, 0x59
	v_lshl_add_u32 v6, v0, 2, 0
	v_cmp_eq_u32_e32 vcc, s4, v0
	v_add_u32_e32 v7, 0x200, v6
	v_add_u32_e32 v8, 0x400, v6
	;; [unrolled: 1-line block ×7, first 2 shown]
	s_waitcnt vmcnt(14)
	ds_write2_b32 v6, v10, v11 offset1:90
	s_waitcnt vmcnt(12)
	ds_write2_b32 v7, v12, v13 offset0:52 offset1:142
	s_waitcnt vmcnt(10)
	ds_write2_b32 v8, v14, v15 offset0:104 offset1:194
	;; [unrolled: 2-line block ×7, first 2 shown]
	s_and_saveexec_b64 s[4:5], vcc
	s_cbranch_execz .LBB0_12
; %bb.11:
	v_add_co_u32_e32 v5, vcc, 0x1000, v5
	v_addc_co_u32_e32 v6, vcc, 0, v4, vcc
	global_load_dword v0, v[5:6], off offset:1664
	s_waitcnt vmcnt(0)
	ds_write_b32 v1, v0 offset:5760
	v_mov_b32_e32 v0, 0x59
.LBB0_12:
	s_or_b64 exec, exec, s[4:5]
.LBB0_13:
	s_or_b64 exec, exec, s[2:3]
	v_lshlrev_b32_e32 v1, 2, v0
	v_add_u32_e32 v24, 0, v1
	s_waitcnt lgkmcnt(0)
	s_barrier
	v_sub_u32_e32 v6, 0, v1
	ds_read_u16 v9, v24
	ds_read_u16 v10, v6 offset:5760
	s_add_u32 s4, s8, 0x1658
	s_addc_u32 s5, s9, 0
	v_cmp_ne_u32_e32 vcc, 0, v0
                                        ; implicit-def: $vgpr4_vgpr5
	s_waitcnt lgkmcnt(0)
	v_add_f16_e32 v7, v10, v9
	v_sub_f16_e32 v8, v9, v10
	s_and_saveexec_b64 s[2:3], vcc
	s_xor_b64 s[2:3], exec, s[2:3]
	s_cbranch_execz .LBB0_15
; %bb.14:
	v_mov_b32_e32 v1, 0
	v_lshlrev_b64 v[4:5], 2, v[0:1]
	v_mov_b32_e32 v7, s5
	v_add_co_u32_e32 v4, vcc, s4, v4
	v_addc_co_u32_e32 v5, vcc, v7, v5, vcc
	global_load_dword v4, v[4:5], off
	ds_read_u16 v5, v6 offset:5762
	ds_read_u16 v7, v24 offset:2
	v_add_f16_e32 v8, v10, v9
	v_sub_f16_e32 v9, v9, v10
	s_waitcnt lgkmcnt(0)
	v_add_f16_e32 v10, v5, v7
	v_sub_f16_e32 v5, v7, v5
	s_waitcnt vmcnt(0)
	v_lshrrev_b32_e32 v7, 16, v4
	v_fma_f16 v11, v9, v7, v8
	v_fma_f16 v12, v10, v7, v5
	v_fma_f16 v13, -v9, v7, v8
	v_fma_f16 v5, v10, v7, -v5
	v_fma_f16 v7, -v4, v10, v11
	v_fma_f16 v8, v9, v4, v12
	v_fma_f16 v10, v4, v10, v13
	;; [unrolled: 1-line block ×3, first 2 shown]
	v_pack_b32_f16 v4, v10, v4
	ds_write_b32 v6, v4 offset:5760
	v_mov_b32_e32 v5, v1
	v_mov_b32_e32 v4, v0
.LBB0_15:
	s_andn2_saveexec_b64 s[2:3], s[2:3]
	s_cbranch_execz .LBB0_17
; %bb.16:
	v_mov_b32_e32 v1, 0
	ds_read_b32 v4, v1 offset:2880
	s_mov_b32 s6, 0xc0004000
	s_waitcnt lgkmcnt(0)
	v_pk_mul_f16 v9, v4, s6
	v_mov_b32_e32 v4, 0
	v_mov_b32_e32 v5, 0
	ds_write_b32 v1, v9 offset:2880
.LBB0_17:
	s_or_b64 exec, exec, s[2:3]
	v_lshlrev_b64 v[4:5], 2, v[4:5]
	v_mov_b32_e32 v1, s5
	v_add_co_u32_e32 v4, vcc, s4, v4
	v_addc_co_u32_e32 v5, vcc, v1, v5, vcc
	global_load_dword v1, v[4:5], off offset:360
	global_load_dword v9, v[4:5], off offset:720
	;; [unrolled: 1-line block ×4, first 2 shown]
	s_mov_b32 s4, 0x5040100
	v_perm_b32 v7, v8, v7, s4
	ds_write_b32 v24, v7
	ds_read_b32 v7, v24 offset:360
	ds_read_b32 v8, v6 offset:5400
	global_load_dword v12, v[4:5], off offset:1800
	global_load_dword v13, v[4:5], off offset:2160
	;; [unrolled: 1-line block ×3, first 2 shown]
	v_add_u32_e32 v26, 0x800, v24
	v_add_u32_e32 v31, 0xc00, v24
	v_add_u32_e32 v27, 0x1000, v24
	s_waitcnt lgkmcnt(0)
	v_add_f16_e32 v4, v7, v8
	v_add_f16_sdwa v5, v8, v7 dst_sel:DWORD dst_unused:UNUSED_PAD src0_sel:WORD_1 src1_sel:WORD_1
	v_sub_f16_e32 v15, v7, v8
	v_sub_f16_sdwa v7, v7, v8 dst_sel:DWORD dst_unused:UNUSED_PAD src0_sel:WORD_1 src1_sel:WORD_1
	v_add_u32_e32 v25, 0xa00, v24
	v_add_u32_e32 v28, 0xe00, v24
	;; [unrolled: 1-line block ×3, first 2 shown]
	s_mov_b32 s2, 0xbb9c
	s_mov_b32 s7, 0xb8b4
	s_movk_i32 s3, 0x34f2
	s_movk_i32 s5, 0x3b9c
	;; [unrolled: 1-line block ×4, first 2 shown]
	v_mad_u32_u24 v55, v0, 36, v24
	s_mov_b32 s11, 0xb4f2
	s_mov_b32 s14, 0xba79
	v_cmp_gt_u32_e32 vcc, 54, v0
	s_waitcnt vmcnt(6)
	v_lshrrev_b32_e32 v8, 16, v1
	v_fma_f16 v16, v15, v8, v4
	v_fma_f16 v17, v5, v8, v7
	v_fma_f16 v4, -v15, v8, v4
	v_fma_f16 v7, v5, v8, -v7
	v_fma_f16 v8, -v1, v5, v16
	v_fma_f16 v16, v15, v1, v17
	v_fma_f16 v4, v1, v5, v4
	v_fma_f16 v1, v15, v1, v7
	v_pack_b32_f16 v5, v8, v16
	v_pack_b32_f16 v1, v4, v1
	ds_write_b32 v24, v5 offset:360
	ds_write_b32 v6, v1 offset:5400
	ds_read_b32 v1, v24 offset:720
	ds_read_b32 v4, v6 offset:5040
	s_waitcnt vmcnt(5)
	v_lshrrev_b32_e32 v5, 16, v9
	s_waitcnt lgkmcnt(0)
	v_add_f16_e32 v7, v1, v4
	v_add_f16_sdwa v8, v4, v1 dst_sel:DWORD dst_unused:UNUSED_PAD src0_sel:WORD_1 src1_sel:WORD_1
	v_sub_f16_e32 v15, v1, v4
	v_sub_f16_sdwa v1, v1, v4 dst_sel:DWORD dst_unused:UNUSED_PAD src0_sel:WORD_1 src1_sel:WORD_1
	v_fma_f16 v4, v15, v5, v7
	v_fma_f16 v16, v8, v5, v1
	v_fma_f16 v7, -v15, v5, v7
	v_fma_f16 v1, v8, v5, -v1
	v_fma_f16 v4, -v9, v8, v4
	v_fma_f16 v5, v15, v9, v16
	v_fma_f16 v7, v9, v8, v7
	v_fma_f16 v1, v15, v9, v1
	v_pack_b32_f16 v4, v4, v5
	v_pack_b32_f16 v1, v7, v1
	ds_write_b32 v24, v4 offset:720
	ds_write_b32 v6, v1 offset:5040
	ds_read_b32 v1, v24 offset:1080
	ds_read_b32 v4, v6 offset:4680
	s_waitcnt vmcnt(4)
	v_lshrrev_b32_e32 v5, 16, v10
	s_waitcnt lgkmcnt(0)
	v_add_f16_e32 v7, v1, v4
	v_add_f16_sdwa v8, v4, v1 dst_sel:DWORD dst_unused:UNUSED_PAD src0_sel:WORD_1 src1_sel:WORD_1
	v_sub_f16_e32 v9, v1, v4
	v_sub_f16_sdwa v1, v1, v4 dst_sel:DWORD dst_unused:UNUSED_PAD src0_sel:WORD_1 src1_sel:WORD_1
	v_fma_f16 v4, v9, v5, v7
	v_fma_f16 v15, v8, v5, v1
	v_fma_f16 v7, -v9, v5, v7
	v_fma_f16 v1, v8, v5, -v1
	v_fma_f16 v4, -v10, v8, v4
	v_fma_f16 v5, v9, v10, v15
	v_fma_f16 v7, v10, v8, v7
	v_fma_f16 v1, v9, v10, v1
	v_pack_b32_f16 v4, v4, v5
	v_pack_b32_f16 v1, v7, v1
	ds_write_b32 v24, v4 offset:1080
	ds_write_b32 v6, v1 offset:4680
	ds_read_b32 v1, v24 offset:1440
	ds_read_b32 v4, v6 offset:4320
	s_waitcnt vmcnt(3)
	v_lshrrev_b32_e32 v5, 16, v11
	s_waitcnt lgkmcnt(0)
	v_add_f16_e32 v7, v1, v4
	v_add_f16_sdwa v8, v4, v1 dst_sel:DWORD dst_unused:UNUSED_PAD src0_sel:WORD_1 src1_sel:WORD_1
	v_sub_f16_e32 v9, v1, v4
	v_sub_f16_sdwa v1, v1, v4 dst_sel:DWORD dst_unused:UNUSED_PAD src0_sel:WORD_1 src1_sel:WORD_1
	v_fma_f16 v4, v9, v5, v7
	v_fma_f16 v10, v8, v5, v1
	v_fma_f16 v7, -v9, v5, v7
	v_fma_f16 v1, v8, v5, -v1
	v_fma_f16 v4, -v11, v8, v4
	v_fma_f16 v5, v9, v11, v10
	v_fma_f16 v7, v11, v8, v7
	v_fma_f16 v1, v9, v11, v1
	v_pack_b32_f16 v4, v4, v5
	v_pack_b32_f16 v1, v7, v1
	ds_write_b32 v24, v4 offset:1440
	ds_write_b32 v6, v1 offset:4320
	ds_read_b32 v1, v24 offset:1800
	ds_read_b32 v4, v6 offset:3960
	s_waitcnt vmcnt(2)
	v_lshrrev_b32_e32 v5, 16, v12
	s_waitcnt lgkmcnt(0)
	v_add_f16_e32 v7, v1, v4
	v_add_f16_sdwa v8, v4, v1 dst_sel:DWORD dst_unused:UNUSED_PAD src0_sel:WORD_1 src1_sel:WORD_1
	v_sub_f16_e32 v9, v1, v4
	v_sub_f16_sdwa v1, v1, v4 dst_sel:DWORD dst_unused:UNUSED_PAD src0_sel:WORD_1 src1_sel:WORD_1
	v_fma_f16 v4, v9, v5, v7
	v_fma_f16 v10, v8, v5, v1
	v_fma_f16 v7, -v9, v5, v7
	v_fma_f16 v1, v8, v5, -v1
	v_fma_f16 v4, -v12, v8, v4
	v_fma_f16 v5, v9, v12, v10
	v_fma_f16 v7, v12, v8, v7
	v_fma_f16 v1, v9, v12, v1
	v_pack_b32_f16 v4, v4, v5
	v_pack_b32_f16 v1, v7, v1
	ds_write_b32 v24, v4 offset:1800
	ds_write_b32 v6, v1 offset:3960
	ds_read_b32 v1, v24 offset:2160
	ds_read_b32 v4, v6 offset:3600
	s_waitcnt vmcnt(1)
	v_lshrrev_b32_e32 v5, 16, v13
	s_waitcnt lgkmcnt(0)
	v_add_f16_e32 v7, v1, v4
	v_add_f16_sdwa v8, v4, v1 dst_sel:DWORD dst_unused:UNUSED_PAD src0_sel:WORD_1 src1_sel:WORD_1
	v_sub_f16_e32 v9, v1, v4
	v_sub_f16_sdwa v1, v1, v4 dst_sel:DWORD dst_unused:UNUSED_PAD src0_sel:WORD_1 src1_sel:WORD_1
	v_fma_f16 v4, v9, v5, v7
	v_fma_f16 v10, v8, v5, v1
	v_fma_f16 v7, -v9, v5, v7
	v_fma_f16 v1, v8, v5, -v1
	v_fma_f16 v4, -v13, v8, v4
	v_fma_f16 v5, v9, v13, v10
	v_fma_f16 v7, v13, v8, v7
	v_fma_f16 v1, v9, v13, v1
	v_pack_b32_f16 v4, v4, v5
	v_pack_b32_f16 v1, v7, v1
	ds_write_b32 v24, v4 offset:2160
	ds_write_b32 v6, v1 offset:3600
	ds_read_b32 v1, v24 offset:2520
	ds_read_b32 v4, v6 offset:3240
	s_waitcnt vmcnt(0)
	v_lshrrev_b32_e32 v5, 16, v14
	s_waitcnt lgkmcnt(0)
	v_add_f16_e32 v7, v1, v4
	v_add_f16_sdwa v8, v4, v1 dst_sel:DWORD dst_unused:UNUSED_PAD src0_sel:WORD_1 src1_sel:WORD_1
	v_sub_f16_e32 v9, v1, v4
	v_sub_f16_sdwa v1, v1, v4 dst_sel:DWORD dst_unused:UNUSED_PAD src0_sel:WORD_1 src1_sel:WORD_1
	v_fma_f16 v4, v9, v5, v7
	v_fma_f16 v10, v8, v5, v1
	v_fma_f16 v7, -v9, v5, v7
	v_fma_f16 v1, v8, v5, -v1
	v_fma_f16 v4, -v14, v8, v4
	v_fma_f16 v5, v9, v14, v10
	v_fma_f16 v7, v14, v8, v7
	;; [unrolled: 1-line block ×3, first 2 shown]
	v_pack_b32_f16 v4, v4, v5
	v_pack_b32_f16 v1, v7, v1
	ds_write_b32 v24, v4 offset:2520
	ds_write_b32 v6, v1 offset:3240
	v_add_u32_e32 v1, 0x400, v24
	v_add_u32_e32 v4, 0x600, v24
	s_waitcnt lgkmcnt(0)
	s_barrier
	s_barrier
	ds_read2_b32 v[10:11], v1 offset0:32 offset1:122
	ds_read2_b32 v[16:17], v4 offset0:48 offset1:138
	;; [unrolled: 1-line block ×8, first 2 shown]
	s_waitcnt lgkmcnt(5)
	v_sub_f16_e32 v21, v10, v4
	s_waitcnt lgkmcnt(3)
	v_sub_f16_e32 v20, v14, v8
	v_add_f16_e32 v29, v21, v20
	v_sub_f16_sdwa v20, v10, v4 dst_sel:DWORD dst_unused:UNUSED_PAD src0_sel:WORD_1 src1_sel:WORD_1
	v_sub_f16_sdwa v21, v14, v8 dst_sel:DWORD dst_unused:UNUSED_PAD src0_sel:WORD_1 src1_sel:WORD_1
	v_add_f16_e32 v30, v20, v21
	s_waitcnt lgkmcnt(0)
	v_sub_f16_e32 v20, v18, v12
	v_sub_f16_e32 v21, v16, v6
	v_add_f16_e32 v32, v21, v20
	v_sub_f16_sdwa v20, v16, v6 dst_sel:DWORD dst_unused:UNUSED_PAD src0_sel:WORD_1 src1_sel:WORD_1
	v_sub_f16_sdwa v21, v18, v12 dst_sel:DWORD dst_unused:UNUSED_PAD src0_sel:WORD_1 src1_sel:WORD_1
	v_add_f16_e32 v33, v20, v21
	ds_read2_b32 v[20:21], v24 offset0:144 offset1:234
	v_add_f16_e32 v22, v6, v12
	v_sub_f16_sdwa v35, v16, v18 dst_sel:DWORD dst_unused:UNUSED_PAD src0_sel:WORD_1 src1_sel:WORD_1
	v_sub_f16_sdwa v36, v6, v12 dst_sel:DWORD dst_unused:UNUSED_PAD src0_sel:WORD_1 src1_sel:WORD_1
	v_sub_f16_e32 v40, v16, v18
	s_waitcnt lgkmcnt(0)
	v_fma_f16 v34, v22, -0.5, v20
	v_fma_f16 v22, v35, s2, v34
	v_fma_f16 v22, v36, s7, v22
	;; [unrolled: 1-line block ×3, first 2 shown]
	v_add_f16_sdwa v22, v6, v12 dst_sel:DWORD dst_unused:UNUSED_PAD src0_sel:WORD_1 src1_sel:WORD_1
	v_lshrrev_b32_e32 v38, 16, v20
	v_fma_f16 v39, v22, -0.5, v38
	v_fma_f16 v22, v40, s5, v39
	v_sub_f16_e32 v41, v6, v12
	v_fma_f16 v22, v41, s6, v22
	v_fma_f16 v42, v33, s3, v22
	ds_read2_b32 v[22:23], v24 offset1:90
	v_mul_f16_e32 v43, 0xb8b4, v42
	v_fma_f16 v43, v37, s10, v43
	v_mul_f16_e32 v37, 0x38b4, v37
	v_fma_f16 v37, v42, s10, v37
	v_add_f16_e32 v42, v4, v8
	v_add_f16_sdwa v47, v4, v8 dst_sel:DWORD dst_unused:UNUSED_PAD src0_sel:WORD_1 src1_sel:WORD_1
	s_waitcnt lgkmcnt(0)
	v_lshrrev_b32_e32 v48, 16, v22
	v_fma_f16 v42, v42, -0.5, v22
	v_sub_f16_sdwa v44, v10, v14 dst_sel:DWORD dst_unused:UNUSED_PAD src0_sel:WORD_1 src1_sel:WORD_1
	v_fma_f16 v47, v47, -0.5, v48
	v_sub_f16_e32 v49, v10, v14
	v_fma_f16 v45, v44, s2, v42
	v_sub_f16_sdwa v46, v4, v8 dst_sel:DWORD dst_unused:UNUSED_PAD src0_sel:WORD_1 src1_sel:WORD_1
	v_fma_f16 v50, v49, s5, v47
	v_sub_f16_e32 v51, v4, v8
	v_fma_f16 v45, v46, s7, v45
	v_fma_f16 v50, v51, s6, v50
	;; [unrolled: 1-line block ×4, first 2 shown]
	v_add_f16_e32 v52, v45, v43
	v_add_f16_e32 v53, v50, v37
	v_pack_b32_f16 v52, v52, v53
	v_pk_add_f16 v53, v22, v10
	v_pk_add_f16 v54, v20, v16
	;; [unrolled: 1-line block ×9, first 2 shown]
	s_barrier
	ds_write2_b32 v55, v56, v52 offset1:1
	v_sub_f16_e32 v52, v8, v14
	v_sub_f16_e32 v56, v4, v10
	v_add_f16_e32 v52, v56, v52
	v_add_f16_e32 v56, v10, v14
	v_fma_f16 v22, v56, -0.5, v22
	v_fma_f16 v56, v46, s5, v22
	v_fma_f16 v22, v46, s2, v22
	;; [unrolled: 1-line block ×6, first 2 shown]
	v_add_f16_sdwa v52, v10, v14 dst_sel:DWORD dst_unused:UNUSED_PAD src0_sel:WORD_1 src1_sel:WORD_1
	v_fma_f16 v48, v52, -0.5, v48
	v_sub_f16_sdwa v4, v4, v10 dst_sel:DWORD dst_unused:UNUSED_PAD src0_sel:WORD_1 src1_sel:WORD_1
	v_sub_f16_sdwa v8, v8, v14 dst_sel:DWORD dst_unused:UNUSED_PAD src0_sel:WORD_1 src1_sel:WORD_1
	v_add_f16_e32 v4, v4, v8
	v_fma_f16 v8, v51, s2, v48
	v_fma_f16 v10, v51, s5, v48
	;; [unrolled: 1-line block ×6, first 2 shown]
	v_sub_f16_e32 v10, v12, v18
	v_sub_f16_e32 v14, v6, v16
	v_add_f16_e32 v10, v14, v10
	v_add_f16_e32 v14, v16, v18
	v_fma_f16 v14, v14, -0.5, v20
	v_fma_f16 v20, v36, s5, v14
	v_fma_f16 v14, v36, s2, v14
	;; [unrolled: 1-line block ×6, first 2 shown]
	v_add_f16_sdwa v14, v16, v18 dst_sel:DWORD dst_unused:UNUSED_PAD src0_sel:WORD_1 src1_sel:WORD_1
	v_fma_f16 v14, v14, -0.5, v38
	v_sub_f16_sdwa v6, v6, v16 dst_sel:DWORD dst_unused:UNUSED_PAD src0_sel:WORD_1 src1_sel:WORD_1
	v_sub_f16_sdwa v12, v12, v18 dst_sel:DWORD dst_unused:UNUSED_PAD src0_sel:WORD_1 src1_sel:WORD_1
	v_add_f16_e32 v6, v6, v12
	v_fma_f16 v12, v41, s2, v14
	v_fma_f16 v14, v41, s5, v14
	;; [unrolled: 1-line block ×6, first 2 shown]
	v_mul_f16_e32 v16, 0xbb9c, v6
	v_mul_f16_e32 v6, 0xb4f2, v6
	;; [unrolled: 1-line block ×4, first 2 shown]
	v_fma_f16 v16, v10, s11, v16
	v_fma_f16 v6, v10, s5, v6
	;; [unrolled: 1-line block ×4, first 2 shown]
	v_add_f16_e32 v10, v22, v16
	v_add_f16_e32 v18, v4, v6
	v_pack_b32_f16 v10, v10, v18
	v_add_f16_e32 v18, v56, v14
	v_add_f16_e32 v20, v8, v12
	v_pack_b32_f16 v18, v18, v20
	ds_write2_b32 v55, v18, v10 offset0:2 offset1:3
	v_fma_f16 v10, v44, s5, v42
	v_fma_f16 v10, v46, s6, v10
	;; [unrolled: 1-line block ×12, first 2 shown]
	v_mul_f16_e32 v30, 0xb8b4, v29
	v_mul_f16_e32 v29, 0xba79, v29
	v_fma_f16 v30, v20, s14, v30
	v_fma_f16 v20, v20, s6, v29
	v_add_f16_e32 v32, v10, v30
	v_add_f16_e32 v33, v18, v20
	v_pk_add_f16 v29, v53, v54 neg_lo:[0,1] neg_hi:[0,1]
	v_pack_b32_f16 v32, v32, v33
	ds_write2_b32 v55, v32, v29 offset0:4 offset1:5
	v_sub_f16_e32 v29, v45, v43
	v_sub_f16_e32 v14, v56, v14
	;; [unrolled: 1-line block ×4, first 2 shown]
	v_pack_b32_f16 v8, v14, v8
	v_pack_b32_f16 v12, v29, v32
	ds_write2_b32 v55, v12, v8 offset0:6 offset1:7
	v_sub_f16_e32 v8, v22, v16
	v_sub_f16_e32 v10, v10, v30
	;; [unrolled: 1-line block ×4, first 2 shown]
	v_pack_b32_f16 v6, v10, v6
	v_pack_b32_f16 v4, v8, v4
	ds_write2_b32 v55, v4, v6 offset0:8 offset1:9
	v_sub_f16_e32 v4, v15, v9
	v_sub_f16_e32 v6, v11, v5
	v_add_f16_e32 v14, v6, v4
	v_sub_f16_e32 v4, v9, v15
	v_sub_f16_e32 v6, v5, v11
	v_add_f16_e32 v16, v6, v4
	v_sub_f16_sdwa v4, v11, v5 dst_sel:DWORD dst_unused:UNUSED_PAD src0_sel:WORD_1 src1_sel:WORD_1
	v_sub_f16_sdwa v6, v15, v9 dst_sel:DWORD dst_unused:UNUSED_PAD src0_sel:WORD_1 src1_sel:WORD_1
	v_add_f16_e32 v39, v4, v6
	v_add_f16_sdwa v4, v5, v9 dst_sel:DWORD dst_unused:UNUSED_PAD src0_sel:WORD_1 src1_sel:WORD_1
	v_lshrrev_b32_e32 v6, 16, v23
	v_fma_f16 v41, v4, -0.5, v6
	v_add_f16_sdwa v4, v11, v15 dst_sel:DWORD dst_unused:UNUSED_PAD src0_sel:WORD_1 src1_sel:WORD_1
	v_fma_f16 v4, v4, -0.5, v6
	v_sub_f16_sdwa v6, v5, v11 dst_sel:DWORD dst_unused:UNUSED_PAD src0_sel:WORD_1 src1_sel:WORD_1
	v_sub_f16_sdwa v8, v9, v15 dst_sel:DWORD dst_unused:UNUSED_PAD src0_sel:WORD_1 src1_sel:WORD_1
	v_add_f16_e32 v33, v6, v8
	v_sub_f16_e32 v6, v19, v13
	v_sub_f16_e32 v8, v17, v7
	v_add_f16_e32 v35, v8, v6
	v_sub_f16_e32 v6, v13, v19
	v_sub_f16_e32 v8, v7, v17
	v_add_f16_e32 v36, v8, v6
	v_sub_f16_sdwa v6, v17, v7 dst_sel:DWORD dst_unused:UNUSED_PAD src0_sel:WORD_1 src1_sel:WORD_1
	v_sub_f16_sdwa v8, v19, v13 dst_sel:DWORD dst_unused:UNUSED_PAD src0_sel:WORD_1 src1_sel:WORD_1
	v_add_f16_e32 v34, v6, v8
	v_add_f16_sdwa v6, v7, v13 dst_sel:DWORD dst_unused:UNUSED_PAD src0_sel:WORD_1 src1_sel:WORD_1
	v_lshrrev_b32_e32 v8, 16, v21
	v_fma_f16 v38, v6, -0.5, v8
	v_add_f16_sdwa v6, v17, v19 dst_sel:DWORD dst_unused:UNUSED_PAD src0_sel:WORD_1 src1_sel:WORD_1
	v_fma_f16 v10, v6, -0.5, v8
	v_sub_f16_sdwa v6, v7, v17 dst_sel:DWORD dst_unused:UNUSED_PAD src0_sel:WORD_1 src1_sel:WORD_1
	v_sub_f16_sdwa v8, v13, v19 dst_sel:DWORD dst_unused:UNUSED_PAD src0_sel:WORD_1 src1_sel:WORD_1
	v_add_f16_e32 v40, v6, v8
	v_add_f16_e32 v6, v7, v13
	v_fma_f16 v51, v6, -0.5, v21
	v_sub_f16_sdwa v48, v17, v19 dst_sel:DWORD dst_unused:UNUSED_PAD src0_sel:WORD_1 src1_sel:WORD_1
	v_fma_f16 v6, v48, s2, v51
	v_sub_f16_sdwa v50, v7, v13 dst_sel:DWORD dst_unused:UNUSED_PAD src0_sel:WORD_1 src1_sel:WORD_1
	v_fma_f16 v6, v50, s7, v6
	v_sub_f16_e32 v46, v17, v19
	v_fma_f16 v8, v35, s3, v6
	v_fma_f16 v6, v46, s5, v38
	v_sub_f16_e32 v49, v7, v13
	v_fma_f16 v6, v49, s6, v6
	v_fma_f16 v12, v34, s3, v6
	v_mul_f16_e32 v6, 0xb8b4, v12
	v_fma_f16 v6, v8, s10, v6
	v_mul_f16_e32 v8, 0x38b4, v8
	v_fma_f16 v8, v12, s10, v8
	v_add_f16_e32 v12, v17, v19
	v_fma_f16 v42, v12, -0.5, v21
	v_fma_f16 v12, v50, s5, v42
	v_fma_f16 v12, v48, s7, v12
	;; [unrolled: 1-line block ×6, first 2 shown]
	v_mul_f16_e32 v12, 0xbb9c, v20
	v_mul_f16_e32 v20, 0x34f2, v20
	v_fma_f16 v12, v18, s3, v12
	v_fma_f16 v18, v18, s5, v20
	v_add_f16_e32 v20, v5, v9
	v_fma_f16 v43, v20, -0.5, v23
	v_sub_f16_sdwa v52, v11, v15 dst_sel:DWORD dst_unused:UNUSED_PAD src0_sel:WORD_1 src1_sel:WORD_1
	v_fma_f16 v20, v52, s2, v43
	v_sub_f16_sdwa v53, v5, v9 dst_sel:DWORD dst_unused:UNUSED_PAD src0_sel:WORD_1 src1_sel:WORD_1
	v_fma_f16 v20, v53, s7, v20
	v_fma_f16 v32, v14, s3, v20
	v_add_f16_e32 v20, v11, v15
	v_fma_f16 v45, v20, -0.5, v23
	v_fma_f16 v20, v53, s5, v45
	v_fma_f16 v20, v52, s7, v20
	v_sub_f16_e32 v54, v11, v15
	v_fma_f16 v37, v16, s3, v20
	v_fma_f16 v20, v54, s5, v41
	v_sub_f16_e32 v55, v5, v9
	v_fma_f16 v20, v55, s6, v20
	v_fma_f16 v44, v39, s3, v20
	;; [unrolled: 1-line block ×5, first 2 shown]
	v_sub_f16_e32 v20, v32, v6
	v_sub_f16_e32 v22, v37, v12
	;; [unrolled: 1-line block ×4, first 2 shown]
	s_and_saveexec_b64 s[2:3], vcc
	s_cbranch_execz .LBB0_19
; %bb.18:
	v_mul_f16_e32 v56, 0x3b9c, v54
	v_sub_f16_e32 v41, v41, v56
	v_mul_f16_e32 v56, 0x38b4, v55
	v_sub_f16_e32 v41, v41, v56
	v_mul_f16_e32 v39, 0x34f2, v39
	v_add_f16_e32 v39, v39, v41
	v_mul_f16_e32 v41, 0x3b9c, v48
	v_add_f16_e32 v41, v51, v41
	;; [unrolled: 2-line block ×3, first 2 shown]
	v_mul_f16_e32 v35, 0x34f2, v35
	v_mul_f16_e32 v55, 0x3b9c, v55
	v_add_f16_e32 v35, v35, v41
	v_mul_f16_e32 v41, 0x3b9c, v46
	v_mul_f16_e32 v56, 0x3b9c, v52
	;; [unrolled: 1-line block ×3, first 2 shown]
	v_sub_f16_e32 v38, v38, v41
	v_mul_f16_e32 v41, 0x38b4, v49
	v_mul_f16_e32 v49, 0x3b9c, v49
	v_add_f16_e32 v4, v55, v4
	v_mul_f16_e32 v51, 0x38b4, v53
	v_mul_f16_e32 v33, 0x34f2, v33
	v_mul_f16_e32 v50, 0x3b9c, v50
	v_mul_f16_e32 v34, 0x34f2, v34
	v_mul_f16_e32 v46, 0x38b4, v46
	v_sub_f16_e32 v38, v38, v41
	v_sub_f16_e32 v4, v4, v54
	v_add_f16_e32 v10, v49, v10
	v_pk_add_f16 v17, v21, v17
	v_add_f16_e32 v21, v43, v56
	v_mul_f16_e32 v14, 0x34f2, v14
	v_mul_f16_e32 v53, 0x3b9c, v53
	;; [unrolled: 1-line block ×4, first 2 shown]
	v_add_f16_e32 v34, v34, v38
	v_add_f16_e32 v4, v33, v4
	v_sub_f16_e32 v33, v42, v50
	v_sub_f16_e32 v10, v10, v46
	v_pk_add_f16 v11, v23, v11
	v_add_f16_e32 v21, v51, v21
	v_mul_f16_e32 v52, 0x38b4, v52
	v_mul_f16_e32 v36, 0x34f2, v36
	v_mul_f16_e32 v38, 0xba79, v34
	v_add_f16_e32 v33, v48, v33
	v_add_f16_e32 v10, v40, v10
	;; [unrolled: 1-line block ×3, first 2 shown]
	v_mul_f16_e32 v21, 0x38b4, v34
	v_sub_f16_e32 v34, v45, v53
	v_pk_add_f16 v5, v11, v5
	v_pk_add_f16 v7, v17, v7
	v_mul_f16_e32 v16, 0x34f2, v16
	v_mul_u32_u24_e32 v41, 36, v0
	v_add_f16_e32 v33, v36, v33
	v_mul_f16_e32 v36, 0xb4f2, v10
	v_add_f16_e32 v34, v52, v34
	v_mul_f16_e32 v10, 0x3b9c, v10
	v_pk_add_f16 v5, v5, v9
	v_pk_add_f16 v7, v7, v13
	v_fma_f16 v36, v33, s5, v36
	v_add_f16_e32 v16, v16, v34
	v_fma_f16 v10, v33, s11, -v10
	v_add_f16_e32 v8, v44, v8
	v_add_f16_e32 v6, v32, v6
	v_pk_add_f16 v5, v5, v15
	v_pk_add_f16 v7, v7, v19
	v_add_u32_e32 v11, v24, v41
	v_fma_f16 v38, v35, s6, v38
	v_sub_f16_e32 v40, v4, v36
	v_fma_f16 v21, v35, s14, -v21
	v_sub_f16_e32 v33, v16, v10
	v_add_f16_e32 v4, v4, v36
	v_add_f16_e32 v18, v47, v18
	;; [unrolled: 1-line block ×4, first 2 shown]
	v_pk_add_f16 v9, v5, v7
	v_add_u32_e32 v13, 0xe10, v11
	v_pack_b32_f16 v6, v6, v8
	v_sub_f16_e32 v23, v14, v21
	v_add_f16_e32 v34, v39, v38
	v_add_f16_e32 v14, v14, v21
	ds_write2_b32 v13, v9, v6 offset1:1
	v_add_u32_e32 v6, 0xe18, v11
	v_pack_b32_f16 v4, v10, v4
	v_pack_b32_f16 v8, v12, v18
	ds_write2_b32 v6, v8, v4 offset1:1
	v_add_u32_e32 v4, 0xe20, v11
	v_pk_add_f16 v5, v5, v7 neg_lo:[0,1] neg_hi:[0,1]
	v_pack_b32_f16 v6, v14, v34
	v_sub_f16_e32 v55, v39, v38
	ds_write2_b32 v4, v6, v5 offset1:1
	v_add_u32_e32 v4, 0xe28, v11
	v_perm_b32 v5, v29, v22, s4
	v_perm_b32 v6, v30, v20, s4
	ds_write2_b32 v4, v6, v5 offset1:1
	v_add_u32_e32 v4, 0xe30, v11
	v_pack_b32_f16 v5, v23, v55
	v_pack_b32_f16 v6, v33, v40
	ds_write2_b32 v4, v6, v5 offset1:1
.LBB0_19:
	s_or_b64 exec, exec, s[2:3]
	v_add_u32_e32 v4, 0x200, v24
	v_add_u32_e32 v5, 0x1200, v24
	s_movk_i32 s2, 0xcd
	s_waitcnt lgkmcnt(0)
	s_barrier
	ds_read2_b32 v[9:10], v24 offset1:90
	ds_read2_b32 v[11:12], v4 offset0:52 offset1:142
	ds_read2_b32 v[13:14], v1 offset0:104 offset1:194
	;; [unrolled: 1-line block ×3, first 2 shown]
	v_mul_lo_u16_sdwa v5, v0, s2 dst_sel:DWORD dst_unused:UNUSED_PAD src0_sel:BYTE_0 src1_sel:DWORD
	v_lshrrev_b16_e32 v45, 11, v5
	v_mul_lo_u16_e32 v5, 10, v45
	v_sub_u16_e32 v46, v0, v5
	v_mov_b32_e32 v5, 15
	v_mul_u32_u24_sdwa v5, v46, v5 dst_sel:DWORD dst_unused:UNUSED_PAD src0_sel:BYTE_0 src1_sel:DWORD
	v_lshlrev_b32_e32 v47, 2, v5
	global_load_dwordx4 v[5:8], v47, s[8:9]
	s_waitcnt lgkmcnt(3)
	v_lshrrev_b32_e32 v48, 16, v10
	ds_read2_b32 v[15:16], v26 offset0:28 offset1:118
	s_waitcnt lgkmcnt(2)
	v_lshrrev_b32_e32 v19, 16, v14
	ds_read2_b32 v[17:18], v25 offset0:80 offset1:170
	ds_read2_b32 v[31:32], v31 offset0:132 offset1:222
	;; [unrolled: 1-line block ×3, first 2 shown]
	s_waitcnt lgkmcnt(3)
	v_lshrrev_b32_e32 v21, 16, v15
	v_lshrrev_b32_e32 v23, 16, v16
	s_waitcnt lgkmcnt(2)
	v_lshrrev_b32_e32 v37, 16, v17
	v_lshrrev_b32_e32 v38, 16, v18
	;; [unrolled: 3-line block ×4, first 2 shown]
	v_lshrrev_b32_e32 v43, 16, v35
	v_lshrrev_b32_e32 v44, 16, v36
	s_mov_b32 s2, 0xb9a8
	s_movk_i32 s3, 0x39a8
	s_mov_b32 s4, 0xbb64
	s_movk_i32 s5, 0x361f
	;; [unrolled: 2-line block ×3, first 2 shown]
	v_cmp_gt_u32_e32 vcc, 30, v0
	s_waitcnt vmcnt(0)
	v_mul_f16_sdwa v49, v5, v48 dst_sel:DWORD dst_unused:UNUSED_PAD src0_sel:WORD_1 src1_sel:DWORD
	v_fma_f16 v49, v5, v10, v49
	v_mul_f16_sdwa v10, v5, v10 dst_sel:DWORD dst_unused:UNUSED_PAD src0_sel:WORD_1 src1_sel:DWORD
	v_fma_f16 v10, v5, v48, -v10
	v_lshrrev_b32_e32 v5, 16, v11
	v_mul_f16_sdwa v48, v6, v5 dst_sel:DWORD dst_unused:UNUSED_PAD src0_sel:WORD_1 src1_sel:DWORD
	v_fma_f16 v48, v6, v11, v48
	v_mul_f16_sdwa v11, v6, v11 dst_sel:DWORD dst_unused:UNUSED_PAD src0_sel:WORD_1 src1_sel:DWORD
	v_fma_f16 v11, v6, v5, -v11
	v_lshrrev_b32_e32 v5, 16, v12
	;; [unrolled: 5-line block ×3, first 2 shown]
	v_mul_f16_sdwa v6, v8, v5 dst_sel:DWORD dst_unused:UNUSED_PAD src0_sel:WORD_1 src1_sel:DWORD
	v_fma_f16 v51, v8, v13, v6
	v_mul_f16_sdwa v6, v8, v13 dst_sel:DWORD dst_unused:UNUSED_PAD src0_sel:WORD_1 src1_sel:DWORD
	v_fma_f16 v13, v8, v5, -v6
	global_load_dwordx4 v[5:8], v47, s[8:9] offset:16
	s_waitcnt vmcnt(0)
	v_mul_f16_sdwa v52, v19, v5 dst_sel:DWORD dst_unused:UNUSED_PAD src0_sel:DWORD src1_sel:WORD_1
	v_fma_f16 v52, v14, v5, v52
	v_mul_f16_sdwa v14, v14, v5 dst_sel:DWORD dst_unused:UNUSED_PAD src0_sel:DWORD src1_sel:WORD_1
	v_fma_f16 v14, v19, v5, -v14
	v_mul_f16_sdwa v5, v21, v6 dst_sel:DWORD dst_unused:UNUSED_PAD src0_sel:DWORD src1_sel:WORD_1
	v_fma_f16 v19, v15, v6, v5
	v_mul_f16_sdwa v5, v15, v6 dst_sel:DWORD dst_unused:UNUSED_PAD src0_sel:DWORD src1_sel:WORD_1
	v_fma_f16 v15, v21, v6, -v5
	;; [unrolled: 4-line block ×4, first 2 shown]
	global_load_dwordx4 v[5:8], v47, s[8:9] offset:32
	v_sub_f16_e32 v23, v9, v23
	s_waitcnt vmcnt(0)
	v_mul_f16_sdwa v37, v38, v5 dst_sel:DWORD dst_unused:UNUSED_PAD src0_sel:DWORD src1_sel:WORD_1
	v_fma_f16 v37, v18, v5, v37
	v_mul_f16_sdwa v18, v18, v5 dst_sel:DWORD dst_unused:UNUSED_PAD src0_sel:DWORD src1_sel:WORD_1
	v_fma_f16 v18, v38, v5, -v18
	v_mul_f16_sdwa v5, v39, v6 dst_sel:DWORD dst_unused:UNUSED_PAD src0_sel:DWORD src1_sel:WORD_1
	v_fma_f16 v38, v31, v6, v5
	v_mul_f16_sdwa v5, v31, v6 dst_sel:DWORD dst_unused:UNUSED_PAD src0_sel:DWORD src1_sel:WORD_1
	v_fma_f16 v31, v39, v6, -v5
	;; [unrolled: 4-line block ×4, first 2 shown]
	global_load_dwordx3 v[5:7], v47, s[8:9] offset:48
	v_sub_f16_e32 v40, v51, v40
	v_sub_f16_e32 v8, v13, v8
	;; [unrolled: 1-line block ×4, first 2 shown]
	v_fma_f16 v41, v51, 2.0, -v40
	v_fma_f16 v13, v13, 2.0, -v8
	v_add_f16_e32 v8, v23, v8
	v_fma_f16 v11, v11, 2.0, -v31
	v_sub_f16_e32 v37, v49, v37
	v_sub_f16_e32 v18, v10, v18
	;; [unrolled: 1-line block ×4, first 2 shown]
	v_fma_f16 v10, v10, 2.0, -v18
	v_fma_f16 v47, v50, 2.0, -v39
	v_fma_f16 v12, v12, 2.0, -v32
	s_waitcnt vmcnt(0)
	s_barrier
	v_mul_f16_sdwa v33, v42, v5 dst_sel:DWORD dst_unused:UNUSED_PAD src0_sel:DWORD src1_sel:WORD_1
	v_fma_f16 v33, v34, v5, v33
	v_mul_f16_sdwa v34, v34, v5 dst_sel:DWORD dst_unused:UNUSED_PAD src0_sel:DWORD src1_sel:WORD_1
	v_fma_f16 v5, v42, v5, -v34
	v_mul_f16_sdwa v34, v43, v6 dst_sel:DWORD dst_unused:UNUSED_PAD src0_sel:DWORD src1_sel:WORD_1
	v_fma_f16 v34, v35, v6, v34
	v_mul_f16_sdwa v35, v35, v6 dst_sel:DWORD dst_unused:UNUSED_PAD src0_sel:DWORD src1_sel:WORD_1
	v_fma_f16 v6, v43, v6, -v35
	;; [unrolled: 4-line block ×3, first 2 shown]
	v_lshrrev_b32_e32 v36, 16, v9
	v_sub_f16_e32 v17, v36, v17
	v_sub_f16_e32 v34, v19, v34
	;; [unrolled: 1-line block ×3, first 2 shown]
	v_fma_f16 v19, v19, 2.0, -v34
	v_fma_f16 v15, v15, 2.0, -v6
	v_sub_f16_e32 v40, v17, v40
	v_add_f16_e32 v6, v38, v6
	v_sub_f16_e32 v34, v31, v34
	v_fma_f16 v9, v9, 2.0, -v23
	v_fma_f16 v36, v36, 2.0, -v17
	v_fma_f16 v42, v48, 2.0, -v38
	v_sub_f16_e32 v33, v52, v33
	v_sub_f16_e32 v5, v14, v5
	;; [unrolled: 1-line block ×4, first 2 shown]
	v_fma_f16 v23, v23, 2.0, -v8
	v_fma_f16 v17, v17, 2.0, -v40
	;; [unrolled: 1-line block ×9, first 2 shown]
	v_add_f16_e32 v5, v37, v5
	v_sub_f16_e32 v33, v18, v33
	v_add_f16_e32 v7, v39, v7
	v_sub_f16_e32 v35, v32, v35
	v_fma_f16 v48, v38, s2, v23
	v_fma_f16 v49, v31, s2, v17
	v_fma_f16 v37, v37, 2.0, -v5
	v_fma_f16 v18, v18, 2.0, -v33
	;; [unrolled: 1-line block ×4, first 2 shown]
	v_fma_f16 v31, v31, s3, v48
	v_fma_f16 v38, v38, s2, v49
	;; [unrolled: 1-line block ×8, first 2 shown]
	v_sub_f16_e32 v41, v9, v41
	v_sub_f16_e32 v13, v36, v13
	;; [unrolled: 1-line block ×8, first 2 shown]
	v_fma_f16 v32, v32, s3, v48
	v_fma_f16 v39, v39, s2, v49
	v_fma_f16 v42, v42, 2.0, -v19
	v_fma_f16 v11, v11, 2.0, -v15
	;; [unrolled: 1-line block ×6, first 2 shown]
	v_add_f16_e32 v15, v41, v15
	v_sub_f16_e32 v19, v13, v19
	v_fma_f16 v37, v37, 2.0, -v32
	v_fma_f16 v18, v18, 2.0, -v39
	v_add_f16_e32 v16, v44, v16
	v_sub_f16_e32 v21, v14, v21
	v_fma_f16 v48, v7, s3, v5
	v_fma_f16 v49, v35, s3, v33
	v_fma_f16 v9, v9, 2.0, -v41
	v_fma_f16 v36, v36, 2.0, -v13
	;; [unrolled: 1-line block ×8, first 2 shown]
	v_fma_f16 v35, v35, s3, v48
	v_fma_f16 v7, v7, s2, v49
	;; [unrolled: 1-line block ×4, first 2 shown]
	v_fma_f16 v8, v8, 2.0, -v34
	v_fma_f16 v40, v40, 2.0, -v6
	;; [unrolled: 1-line block ×4, first 2 shown]
	v_fma_f16 v18, v18, s5, v48
	v_fma_f16 v37, v37, s6, v49
	v_fma_f16 v48, v44, s2, v41
	v_fma_f16 v49, v14, s2, v13
	v_fma_f16 v14, v14, s3, v48
	v_fma_f16 v44, v44, s2, v49
	v_fma_f16 v48, v5, s6, v8
	v_fma_f16 v49, v33, s6, v40
	v_fma_f16 v33, v33, s7, v48
	v_fma_f16 v5, v5, s4, v49
	v_fma_f16 v48, v32, s5, v31
	v_fma_f16 v49, v39, s5, v38
	v_fma_f16 v39, v39, s7, v48
	v_fma_f16 v48, v32, s4, v49
	v_fma_f16 v32, v16, s3, v15
	v_sub_f16_e32 v42, v9, v42
	v_sub_f16_e32 v11, v36, v11
	;; [unrolled: 1-line block ×4, first 2 shown]
	v_fma_f16 v49, v21, s3, v19
	v_fma_f16 v50, v21, s3, v32
	;; [unrolled: 1-line block ×3, first 2 shown]
	v_fma_f16 v9, v9, 2.0, -v42
	v_fma_f16 v36, v36, 2.0, -v11
	;; [unrolled: 1-line block ×4, first 2 shown]
	v_fma_f16 v21, v7, s5, v21
	v_sub_f16_e32 v43, v9, v43
	v_sub_f16_e32 v10, v36, v10
	v_fma_f16 v32, v7, s7, v6
	v_fma_f16 v7, v34, 2.0, -v21
	v_mul_u32_u24_e32 v34, 0xa0, v45
	v_fma_f16 v9, v9, 2.0, -v43
	v_fma_f16 v36, v36, 2.0, -v10
	;; [unrolled: 1-line block ×4, first 2 shown]
	v_or_b32_sdwa v34, v34, v46 dst_sel:DWORD dst_unused:UNUSED_PAD src0_sel:DWORD src1_sel:BYTE_0
	v_fma_f16 v41, v41, 2.0, -v14
	v_fma_f16 v13, v13, 2.0, -v44
	;; [unrolled: 1-line block ×4, first 2 shown]
	v_add_f16_e32 v12, v42, v12
	v_sub_f16_e32 v47, v11, v47
	v_lshl_add_u32 v34, v34, 2, 0
	v_pack_b32_f16 v9, v9, v36
	v_pack_b32_f16 v17, v23, v17
	v_fma_f16 v42, v42, 2.0, -v12
	v_fma_f16 v11, v11, 2.0, -v47
	v_fma_f16 v31, v31, 2.0, -v39
	v_fma_f16 v38, v38, 2.0, -v48
	v_fma_f16 v16, v16, s2, v49
	v_fma_f16 v32, v35, s6, v32
	ds_write2_b32 v34, v9, v17 offset1:10
	v_pack_b32_f16 v9, v41, v13
	v_pack_b32_f16 v8, v8, v40
	v_fma_f16 v15, v15, 2.0, -v50
	v_fma_f16 v19, v19, 2.0, -v16
	;; [unrolled: 1-line block ×3, first 2 shown]
	ds_write2_b32 v34, v9, v8 offset0:20 offset1:30
	v_pack_b32_f16 v8, v42, v11
	v_pack_b32_f16 v9, v31, v38
	ds_write2_b32 v34, v8, v9 offset0:40 offset1:50
	v_pack_b32_f16 v8, v15, v19
	v_pack_b32_f16 v6, v7, v6
	;; [unrolled: 3-line block ×6, first 2 shown]
	ds_write2_b32 v34, v5, v6 offset0:140 offset1:150
	s_waitcnt lgkmcnt(0)
	s_barrier
	ds_read2_b32 v[10:11], v24 offset1:90
	ds_read2_b32 v[6:7], v1 offset0:104 offset1:224
	ds_read2_b32 v[18:19], v28 offset0:64 offset1:154
	;; [unrolled: 1-line block ×6, first 2 shown]
	ds_read_b32 v23, v24 offset:5280
	s_and_saveexec_b64 s[2:3], vcc
	s_cbranch_execz .LBB0_21
; %bb.20:
	ds_read_b32 v21, v24 offset:1800
	ds_read_b32 v20, v24 offset:3720
	;; [unrolled: 1-line block ×3, first 2 shown]
	s_waitcnt lgkmcnt(2)
	v_lshrrev_b32_e32 v32, 16, v21
	s_waitcnt lgkmcnt(1)
	v_lshrrev_b32_e32 v30, 16, v20
	s_waitcnt lgkmcnt(0)
	v_lshrrev_b32_e32 v29, 16, v22
.LBB0_21:
	s_or_b64 exec, exec, s[2:3]
	v_lshlrev_b32_e32 v26, 1, v0
	v_mov_b32_e32 v27, 0
	v_lshlrev_b64 v[4:5], 2, v[26:27]
	v_mov_b32_e32 v1, s9
	v_add_co_u32_e64 v4, s[2:3], s8, v4
	v_addc_co_u32_e64 v5, s[2:3], v1, v5, s[2:3]
	s_movk_i32 s2, 0x46
	v_add_u32_e32 v25, 0x5a, v0
	v_add_u32_e32 v28, 0xffffffba, v0
	v_cmp_gt_u32_e64 s[2:3], s2, v0
	v_cndmask_b32_e64 v44, v28, v25, s[2:3]
	v_lshlrev_b32_e32 v36, 1, v44
	v_mov_b32_e32 v37, v27
	v_lshlrev_b64 v[36:37], 2, v[36:37]
	v_add_u32_e32 v26, 40, v26
	v_add_co_u32_e64 v36, s[2:3], s8, v36
	v_lshlrev_b64 v[26:27], 2, v[26:27]
	v_addc_co_u32_e64 v37, s[2:3], v1, v37, s[2:3]
	v_add_co_u32_e64 v26, s[2:3], s8, v26
	v_addc_co_u32_e64 v27, s[2:3], v1, v27, s[2:3]
	v_add_u32_e32 v31, 0x10e, v0
	s_mov_b32 s2, 0xcccd
	v_mul_u32_u24_sdwa v1, v31, s2 dst_sel:DWORD dst_unused:UNUSED_PAD src0_sel:WORD_0 src1_sel:DWORD
	v_lshrrev_b32_e32 v45, 23, v1
	global_load_dwordx2 v[34:35], v[4:5], off offset:600
	v_mul_lo_u16_e32 v1, 0xa0, v45
	v_sub_u16_e32 v46, v31, v1
	v_lshlrev_b32_e32 v1, 3, v46
	global_load_dwordx2 v[38:39], v1, s[8:9] offset:600
	v_add_u32_e32 v28, 0x168, v0
	global_load_dwordx2 v[36:37], v[36:37], off offset:600
	v_mul_u32_u24_sdwa v1, v28, s2 dst_sel:DWORD dst_unused:UNUSED_PAD src0_sel:WORD_0 src1_sel:DWORD
	v_lshrrev_b32_e32 v1, 23, v1
	v_mul_lo_u16_e32 v1, 0xa0, v1
	global_load_dwordx2 v[26:27], v[26:27], off offset:600
	v_sub_u16_e32 v47, v28, v1
	v_lshlrev_b32_e32 v1, 3, v47
	global_load_dwordx2 v[40:41], v1, s[8:9] offset:600
	v_add_u32_e32 v1, 0x1c2, v0
	v_mul_u32_u24_sdwa v33, v1, s2 dst_sel:DWORD dst_unused:UNUSED_PAD src0_sel:WORD_0 src1_sel:DWORD
	v_lshrrev_b32_e32 v33, 23, v33
	v_mul_lo_u16_e32 v33, 0xa0, v33
	v_sub_u16_e32 v33, v1, v33
	v_lshlrev_b32_e32 v42, 3, v33
	global_load_dwordx2 v[42:43], v42, s[8:9] offset:600
	s_waitcnt lgkmcnt(6)
	v_lshrrev_b32_e32 v56, 16, v7
	s_waitcnt lgkmcnt(5)
	v_lshrrev_b32_e32 v57, 16, v18
	;; [unrolled: 2-line block ×4, first 2 shown]
	v_lshrrev_b32_e32 v52, 16, v15
	s_waitcnt lgkmcnt(0)
	v_lshrrev_b32_e32 v55, 16, v23
	v_lshrrev_b32_e32 v48, 16, v10
	s_mov_b32 s2, 0xbaee
	s_movk_i32 s3, 0x3aee
	v_lshrrev_b32_e32 v49, 16, v11
	v_lshrrev_b32_e32 v50, 16, v8
	;; [unrolled: 1-line block ×4, first 2 shown]
	s_waitcnt vmcnt(0)
	s_barrier
	v_mul_f16_sdwa v60, v34, v7 dst_sel:DWORD dst_unused:UNUSED_PAD src0_sel:WORD_1 src1_sel:DWORD
	v_mul_f16_sdwa v59, v34, v56 dst_sel:DWORD dst_unused:UNUSED_PAD src0_sel:WORD_1 src1_sel:DWORD
	v_fma_f16 v56, v34, v56, -v60
	v_mul_f16_sdwa v60, v35, v18 dst_sel:DWORD dst_unused:UNUSED_PAD src0_sel:WORD_1 src1_sel:DWORD
	v_fma_f16 v60, v35, v57, -v60
	v_mul_f16_sdwa v57, v35, v57 dst_sel:DWORD dst_unused:UNUSED_PAD src0_sel:WORD_1 src1_sel:DWORD
	v_fma_f16 v7, v34, v7, v59
	v_lshrrev_b32_e32 v34, 16, v19
	v_fma_f16 v18, v35, v18, v57
	v_mul_f16_sdwa v35, v37, v34 dst_sel:DWORD dst_unused:UNUSED_PAD src0_sel:WORD_1 src1_sel:DWORD
	v_fma_f16 v35, v37, v19, v35
	v_mul_f16_sdwa v19, v37, v19 dst_sel:DWORD dst_unused:UNUSED_PAD src0_sel:WORD_1 src1_sel:DWORD
	v_lshrrev_b32_e32 v57, 16, v17
	v_fma_f16 v19, v37, v34, -v19
	v_mul_f16_sdwa v37, v36, v58 dst_sel:DWORD dst_unused:UNUSED_PAD src0_sel:WORD_1 src1_sel:DWORD
	v_mul_f16_sdwa v34, v36, v16 dst_sel:DWORD dst_unused:UNUSED_PAD src0_sel:WORD_1 src1_sel:DWORD
	v_fma_f16 v16, v36, v16, v37
	v_mul_f16_sdwa v37, v26, v57 dst_sel:DWORD dst_unused:UNUSED_PAD src0_sel:WORD_1 src1_sel:DWORD
	v_fma_f16 v37, v26, v17, v37
	v_mul_f16_sdwa v17, v26, v17 dst_sel:DWORD dst_unused:UNUSED_PAD src0_sel:WORD_1 src1_sel:DWORD
	v_fma_f16 v34, v36, v58, -v34
	v_lshrrev_b32_e32 v36, 16, v14
	v_fma_f16 v17, v26, v57, -v17
	v_mul_f16_sdwa v26, v27, v14 dst_sel:DWORD dst_unused:UNUSED_PAD src0_sel:WORD_1 src1_sel:DWORD
	v_lshrrev_b32_e32 v58, 16, v12
	v_fma_f16 v26, v27, v36, -v26
	v_mul_f16_sdwa v36, v27, v36 dst_sel:DWORD dst_unused:UNUSED_PAD src0_sel:WORD_1 src1_sel:DWORD
	v_fma_f16 v14, v27, v14, v36
	v_mul_f16_sdwa v27, v38, v58 dst_sel:DWORD dst_unused:UNUSED_PAD src0_sel:WORD_1 src1_sel:DWORD
	v_fma_f16 v27, v38, v12, v27
	v_mul_f16_sdwa v12, v38, v12 dst_sel:DWORD dst_unused:UNUSED_PAD src0_sel:WORD_1 src1_sel:DWORD
	v_fma_f16 v12, v38, v58, -v12
	v_mul_f16_sdwa v38, v54, v40 dst_sel:DWORD dst_unused:UNUSED_PAD src0_sel:DWORD src1_sel:WORD_1
	v_mul_f16_sdwa v36, v52, v39 dst_sel:DWORD dst_unused:UNUSED_PAD src0_sel:DWORD src1_sel:WORD_1
	v_fma_f16 v38, v13, v40, v38
	v_mul_f16_sdwa v13, v13, v40 dst_sel:DWORD dst_unused:UNUSED_PAD src0_sel:DWORD src1_sel:WORD_1
	v_fma_f16 v36, v15, v39, v36
	v_mul_f16_sdwa v15, v15, v39 dst_sel:DWORD dst_unused:UNUSED_PAD src0_sel:DWORD src1_sel:WORD_1
	v_fma_f16 v13, v54, v40, -v13
	v_mul_f16_sdwa v40, v30, v42 dst_sel:DWORD dst_unused:UNUSED_PAD src0_sel:DWORD src1_sel:WORD_1
	v_fma_f16 v15, v52, v39, -v15
	v_mul_f16_sdwa v39, v55, v41 dst_sel:DWORD dst_unused:UNUSED_PAD src0_sel:DWORD src1_sel:WORD_1
	v_fma_f16 v40, v20, v42, v40
	v_mul_f16_sdwa v20, v20, v42 dst_sel:DWORD dst_unused:UNUSED_PAD src0_sel:DWORD src1_sel:WORD_1
	v_fma_f16 v39, v23, v41, v39
	v_mul_f16_sdwa v23, v23, v41 dst_sel:DWORD dst_unused:UNUSED_PAD src0_sel:DWORD src1_sel:WORD_1
	v_fma_f16 v30, v30, v42, -v20
	v_mul_f16_sdwa v20, v29, v43 dst_sel:DWORD dst_unused:UNUSED_PAD src0_sel:DWORD src1_sel:WORD_1
	v_fma_f16 v23, v55, v41, -v23
	v_fma_f16 v41, v22, v43, v20
	v_mul_f16_sdwa v20, v22, v43 dst_sel:DWORD dst_unused:UNUSED_PAD src0_sel:DWORD src1_sel:WORD_1
	v_fma_f16 v29, v29, v43, -v20
	v_add_f16_e32 v20, v10, v7
	v_add_f16_e32 v42, v20, v18
	v_add_f16_e32 v20, v7, v18
	v_fma_f16 v10, v20, -0.5, v10
	v_sub_f16_e32 v20, v56, v60
	v_fma_f16 v43, v20, s2, v10
	v_fma_f16 v10, v20, s3, v10
	v_add_f16_e32 v20, v48, v56
	v_add_f16_e32 v52, v20, v60
	v_add_f16_e32 v20, v56, v60
	v_fma_f16 v20, v20, -0.5, v48
	v_sub_f16_e32 v7, v7, v18
	v_fma_f16 v18, v7, s3, v20
	v_fma_f16 v7, v7, s2, v20
	;; [unrolled: 7-line block ×3, first 2 shown]
	v_add_f16_e32 v20, v49, v34
	v_add_f16_e32 v55, v20, v19
	;; [unrolled: 1-line block ×3, first 2 shown]
	v_fma_f16 v19, v19, -0.5, v49
	v_sub_f16_e32 v16, v16, v35
	v_add_f16_e32 v20, v37, v14
	v_fma_f16 v34, v16, s3, v19
	v_fma_f16 v16, v16, s2, v19
	v_add_f16_e32 v19, v8, v37
	v_fma_f16 v8, v20, -0.5, v8
	v_sub_f16_e32 v20, v17, v26
	v_fma_f16 v35, v20, s2, v8
	v_fma_f16 v8, v20, s3, v8
	v_add_f16_e32 v20, v50, v17
	v_add_f16_e32 v17, v17, v26
	v_add_f16_e32 v19, v19, v14
	v_add_f16_e32 v49, v20, v26
	v_fma_f16 v17, v17, -0.5, v50
	v_sub_f16_e32 v14, v37, v14
	v_add_f16_e32 v20, v27, v36
	v_fma_f16 v37, v14, s3, v17
	v_fma_f16 v14, v14, s2, v17
	v_add_f16_e32 v17, v9, v27
	v_fma_f16 v9, v20, -0.5, v9
	v_sub_f16_e32 v20, v12, v15
	v_fma_f16 v50, v20, s2, v9
	v_fma_f16 v9, v20, s3, v9
	v_add_f16_e32 v20, v51, v12
	v_add_f16_e32 v12, v12, v15
	;; [unrolled: 1-line block ×3, first 2 shown]
	v_fma_f16 v12, v12, -0.5, v51
	v_sub_f16_e32 v15, v27, v36
	v_add_f16_e32 v20, v38, v39
	v_add_f16_e32 v17, v17, v36
	v_fma_f16 v36, v15, s3, v12
	v_fma_f16 v12, v15, s2, v12
	v_add_f16_e32 v15, v6, v38
	v_fma_f16 v6, v20, -0.5, v6
	v_sub_f16_e32 v20, v13, v23
	v_fma_f16 v51, v20, s2, v6
	v_fma_f16 v6, v20, s3, v6
	v_add_f16_e32 v20, v53, v13
	v_add_f16_e32 v13, v13, v23
	;; [unrolled: 1-line block ×3, first 2 shown]
	v_fma_f16 v13, v13, -0.5, v53
	v_sub_f16_e32 v20, v38, v39
	v_add_f16_e32 v22, v40, v41
	v_fma_f16 v38, v20, s3, v13
	v_fma_f16 v13, v20, s2, v13
	v_add_f16_e32 v20, v21, v40
	v_fma_f16 v21, v22, -0.5, v21
	v_sub_f16_e32 v23, v30, v29
	v_fma_f16 v22, v23, s2, v21
	v_fma_f16 v23, v23, s3, v21
	v_add_f16_e32 v21, v32, v30
	v_add_f16_e32 v26, v30, v29
	;; [unrolled: 1-line block ×3, first 2 shown]
	v_fma_f16 v27, v26, -0.5, v32
	v_sub_f16_e32 v29, v40, v41
	v_fma_f16 v26, v29, s3, v27
	v_fma_f16 v27, v29, s2, v27
	v_pack_b32_f16 v7, v10, v7
	s_movk_i32 s2, 0x45
	ds_write_b32 v24, v7 offset:1280
	v_mov_b32_e32 v7, 0x780
	v_cmp_lt_u32_e64 s[2:3], s2, v0
	v_pack_b32_f16 v29, v42, v52
	v_pack_b32_f16 v18, v43, v18
	v_cndmask_b32_e64 v7, 0, v7, s[2:3]
	v_lshlrev_b32_e32 v10, 2, v44
	ds_write2_b32 v24, v29, v18 offset1:160
	v_add3_u32 v7, 0, v7, v10
	v_pack_b32_f16 v10, v48, v55
	v_pack_b32_f16 v18, v54, v34
	ds_write2_b32 v7, v10, v18 offset1:160
	v_pack_b32_f16 v10, v11, v16
	ds_write_b32 v7, v10 offset:1280
	v_pack_b32_f16 v7, v19, v49
	v_pack_b32_f16 v10, v35, v37
	v_add_u32_e32 v11, 0x700, v24
	ds_write2_b32 v11, v7, v10 offset0:52 offset1:212
	v_pack_b32_f16 v7, v8, v14
	ds_write_b32 v24, v7 offset:3280
	v_mul_u32_u24_e32 v7, 0x780, v45
	v_lshlrev_b32_e32 v8, 2, v46
	v_add3_u32 v7, 0, v7, v8
	v_pack_b32_f16 v8, v17, v56
	v_pack_b32_f16 v10, v50, v36
	ds_write2_b32 v7, v8, v10 offset1:160
	v_pack_b32_f16 v8, v9, v12
	v_add_f16_e32 v15, v15, v39
	ds_write_b32 v7, v8 offset:1280
	v_lshl_add_u32 v7, v47, 2, 0
	v_add_f16_e32 v20, v20, v41
	v_pack_b32_f16 v8, v15, v57
	v_pack_b32_f16 v9, v51, v38
	v_add_u32_e32 v10, 0xe00, v7
	v_pack_b32_f16 v6, v6, v13
	ds_write2_b32 v10, v8, v9 offset0:64 offset1:224
	ds_write_b32 v7, v6 offset:5120
	s_and_saveexec_b64 s[2:3], vcc
	s_cbranch_execz .LBB0_23
; %bb.22:
	v_lshl_add_u32 v6, v33, 2, 0
	s_mov_b32 s4, 0x5040100
	v_perm_b32 v7, v21, v20, s4
	v_perm_b32 v8, v26, v22, s4
	v_add_u32_e32 v9, 0xe00, v6
	ds_write2_b32 v9, v7, v8 offset0:64 offset1:224
	v_perm_b32 v7, v27, v23, s4
	ds_write_b32 v6, v7 offset:5120
.LBB0_23:
	s_or_b64 exec, exec, s[2:3]
	v_add_u32_e32 v29, 0x400, v24
	v_add_u32_e32 v8, 0xe00, v24
	;; [unrolled: 1-line block ×6, first 2 shown]
	s_waitcnt lgkmcnt(0)
	s_barrier
	ds_read2_b32 v[10:11], v24 offset1:90
	ds_read2_b32 v[6:7], v29 offset0:104 offset1:224
	ds_read2_b32 v[18:19], v8 offset0:64 offset1:154
	ds_read2_b32 v[16:17], v30 offset0:58 offset1:148
	ds_read2_b32 v[8:9], v34 offset0:52 offset1:142
	ds_read2_b32 v[14:15], v33 offset0:116 offset1:206
	ds_read2_b32 v[12:13], v32 offset0:110 offset1:200
	ds_read_b32 v35, v24 offset:5280
	s_and_saveexec_b64 s[2:3], vcc
	s_cbranch_execz .LBB0_25
; %bb.24:
	ds_read_b32 v20, v24 offset:1800
	ds_read_b32 v22, v24 offset:3720
	;; [unrolled: 1-line block ×3, first 2 shown]
	s_waitcnt lgkmcnt(2)
	v_lshrrev_b32_e32 v21, 16, v20
	s_waitcnt lgkmcnt(1)
	v_lshrrev_b32_e32 v26, 16, v22
	;; [unrolled: 2-line block ×3, first 2 shown]
.LBB0_25:
	s_or_b64 exec, exec, s[2:3]
	global_load_dwordx2 v[36:37], v[4:5], off offset:1880
	v_lshlrev_b32_e32 v4, 1, v25
	v_mov_b32_e32 v5, 0
	v_lshlrev_b64 v[38:39], 2, v[4:5]
	v_mov_b32_e32 v4, 0x168
	v_lshl_add_u32 v4, v0, 1, v4
	v_mov_b32_e32 v25, s9
	v_add_co_u32_e64 v38, s[2:3], s8, v38
	v_lshlrev_b64 v[40:41], 2, v[4:5]
	v_addc_co_u32_e64 v39, s[2:3], v25, v39, s[2:3]
	v_lshlrev_b32_e32 v4, 1, v31
	v_add_co_u32_e64 v40, s[2:3], s8, v40
	v_lshlrev_b64 v[42:43], 2, v[4:5]
	v_addc_co_u32_e64 v41, s[2:3], v25, v41, s[2:3]
	v_lshlrev_b32_e32 v4, 1, v28
	v_add_co_u32_e64 v42, s[2:3], s8, v42
	v_lshlrev_b64 v[44:45], 2, v[4:5]
	global_load_dwordx2 v[38:39], v[38:39], off offset:1880
	v_addc_co_u32_e64 v43, s[2:3], v25, v43, s[2:3]
	global_load_dwordx2 v[40:41], v[40:41], off offset:1880
	v_add_co_u32_e64 v44, s[2:3], s8, v44
	global_load_dwordx2 v[42:43], v[42:43], off offset:1880
	v_addc_co_u32_e64 v45, s[2:3], v25, v45, s[2:3]
	global_load_dwordx2 v[44:45], v[44:45], off offset:1880
	s_waitcnt lgkmcnt(5)
	v_lshrrev_b32_e32 v55, 16, v18
	v_lshrrev_b32_e32 v56, 16, v7
	;; [unrolled: 1-line block ×3, first 2 shown]
	s_waitcnt lgkmcnt(4)
	v_lshrrev_b32_e32 v54, 16, v16
	v_lshrrev_b32_e32 v52, 16, v17
	s_waitcnt lgkmcnt(2)
	v_lshrrev_b32_e32 v46, 16, v15
	v_lshrrev_b32_e32 v51, 16, v14
	;; [unrolled: 3-line block ×3, first 2 shown]
	v_lshrrev_b32_e32 v4, 16, v10
	s_mov_b32 s4, 0xbaee
	s_movk_i32 s5, 0x3aee
	v_lshrrev_b32_e32 v25, 16, v11
	v_lshrrev_b32_e32 v28, 16, v8
	s_waitcnt lgkmcnt(0)
	v_lshrrev_b32_e32 v49, 16, v35
	v_lshrrev_b32_e32 v31, 16, v9
	;; [unrolled: 1-line block ×3, first 2 shown]
	s_waitcnt vmcnt(0)
	s_barrier
	v_mul_f16_sdwa v57, v36, v56 dst_sel:DWORD dst_unused:UNUSED_PAD src0_sel:WORD_1 src1_sel:DWORD
	v_mul_f16_sdwa v58, v36, v7 dst_sel:DWORD dst_unused:UNUSED_PAD src0_sel:WORD_1 src1_sel:DWORD
	;; [unrolled: 1-line block ×4, first 2 shown]
	v_fma_f16 v7, v36, v7, v57
	v_fma_f16 v36, v36, v56, -v58
	v_fma_f16 v18, v37, v18, v59
	v_fma_f16 v37, v37, v55, -v60
	v_add_f16_e32 v55, v10, v7
	v_add_f16_e32 v55, v55, v18
	v_mul_f16_sdwa v56, v38, v54 dst_sel:DWORD dst_unused:UNUSED_PAD src0_sel:WORD_1 src1_sel:DWORD
	v_mul_f16_sdwa v57, v38, v16 dst_sel:DWORD dst_unused:UNUSED_PAD src0_sel:WORD_1 src1_sel:DWORD
	;; [unrolled: 1-line block ×4, first 2 shown]
	v_fma_f16 v16, v38, v16, v56
	v_fma_f16 v38, v38, v54, -v57
	v_fma_f16 v19, v39, v19, v58
	v_fma_f16 v39, v39, v53, -v59
	v_mul_f16_sdwa v53, v40, v52 dst_sel:DWORD dst_unused:UNUSED_PAD src0_sel:WORD_1 src1_sel:DWORD
	v_mul_f16_sdwa v54, v40, v17 dst_sel:DWORD dst_unused:UNUSED_PAD src0_sel:WORD_1 src1_sel:DWORD
	;; [unrolled: 1-line block ×4, first 2 shown]
	v_fma_f16 v17, v40, v17, v53
	v_fma_f16 v40, v40, v52, -v54
	v_mul_f16_sdwa v53, v46, v43 dst_sel:DWORD dst_unused:UNUSED_PAD src0_sel:DWORD src1_sel:WORD_1
	v_mul_f16_sdwa v54, v15, v43 dst_sel:DWORD dst_unused:UNUSED_PAD src0_sel:DWORD src1_sel:WORD_1
	v_fma_f16 v14, v41, v14, v56
	v_fma_f16 v41, v41, v51, -v57
	v_mul_f16_sdwa v51, v42, v50 dst_sel:DWORD dst_unused:UNUSED_PAD src0_sel:WORD_1 src1_sel:DWORD
	v_mul_f16_sdwa v52, v42, v12 dst_sel:DWORD dst_unused:UNUSED_PAD src0_sel:WORD_1 src1_sel:DWORD
	v_fma_f16 v15, v15, v43, v53
	v_fma_f16 v43, v46, v43, -v54
	v_mul_f16_sdwa v46, v48, v44 dst_sel:DWORD dst_unused:UNUSED_PAD src0_sel:DWORD src1_sel:WORD_1
	v_fma_f16 v12, v42, v12, v51
	v_fma_f16 v42, v42, v50, -v52
	v_mul_f16_sdwa v50, v13, v44 dst_sel:DWORD dst_unused:UNUSED_PAD src0_sel:DWORD src1_sel:WORD_1
	v_fma_f16 v13, v13, v44, v46
	v_add_f16_e32 v46, v7, v18
	v_fma_f16 v10, v46, -0.5, v10
	v_sub_f16_e32 v46, v36, v37
	v_fma_f16 v44, v48, v44, -v50
	v_fma_f16 v48, v46, s4, v10
	v_fma_f16 v10, v46, s5, v10
	v_add_f16_e32 v46, v4, v36
	v_add_f16_e32 v36, v36, v37
	v_fma_f16 v4, v36, -0.5, v4
	v_sub_f16_e32 v7, v7, v18
	v_add_f16_e32 v36, v16, v19
	v_fma_f16 v18, v7, s5, v4
	v_fma_f16 v4, v7, s4, v4
	v_add_f16_e32 v7, v11, v16
	v_fma_f16 v11, v36, -0.5, v11
	v_sub_f16_e32 v36, v38, v39
	v_add_f16_e32 v46, v46, v37
	v_fma_f16 v37, v36, s4, v11
	v_fma_f16 v11, v36, s5, v11
	v_add_f16_e32 v36, v25, v38
	v_add_f16_e32 v38, v38, v39
	v_fma_f16 v25, v38, -0.5, v25
	v_sub_f16_e32 v16, v16, v19
	v_add_f16_e32 v38, v17, v14
	v_add_f16_e32 v7, v7, v19
	v_fma_f16 v19, v16, s5, v25
	v_fma_f16 v16, v16, s4, v25
	v_add_f16_e32 v25, v8, v17
	v_fma_f16 v8, v38, -0.5, v8
	v_sub_f16_e32 v38, v40, v41
	v_add_f16_e32 v36, v36, v39
	v_fma_f16 v39, v38, s4, v8
	v_fma_f16 v8, v38, s5, v8
	v_add_f16_e32 v38, v28, v40
	v_add_f16_e32 v40, v40, v41
	;; [unrolled: 1-line block ×3, first 2 shown]
	v_fma_f16 v28, v40, -0.5, v28
	v_sub_f16_e32 v14, v17, v14
	v_add_f16_e32 v40, v12, v15
	v_mul_f16_sdwa v51, v49, v45 dst_sel:DWORD dst_unused:UNUSED_PAD src0_sel:DWORD src1_sel:WORD_1
	v_fma_f16 v17, v14, s5, v28
	v_fma_f16 v14, v14, s4, v28
	v_add_f16_e32 v28, v9, v12
	v_fma_f16 v9, v40, -0.5, v9
	v_sub_f16_e32 v40, v42, v43
	v_mul_f16_sdwa v52, v35, v45 dst_sel:DWORD dst_unused:UNUSED_PAD src0_sel:DWORD src1_sel:WORD_1
	v_fma_f16 v35, v35, v45, v51
	v_add_f16_e32 v38, v38, v41
	v_fma_f16 v41, v40, s4, v9
	v_fma_f16 v9, v40, s5, v9
	v_add_f16_e32 v40, v31, v42
	v_add_f16_e32 v42, v42, v43
	v_fma_f16 v45, v49, v45, -v52
	v_fma_f16 v31, v42, -0.5, v31
	v_sub_f16_e32 v12, v12, v15
	v_add_f16_e32 v42, v13, v35
	v_add_f16_e32 v28, v28, v15
	v_fma_f16 v15, v12, s5, v31
	v_fma_f16 v12, v12, s4, v31
	v_add_f16_e32 v31, v6, v13
	v_fma_f16 v6, v42, -0.5, v6
	v_sub_f16_e32 v42, v44, v45
	v_add_f16_e32 v40, v40, v43
	v_fma_f16 v43, v42, s4, v6
	v_fma_f16 v6, v42, s5, v6
	v_add_f16_e32 v42, v47, v44
	v_add_f16_e32 v44, v44, v45
	v_fma_f16 v44, v44, -0.5, v47
	v_sub_f16_e32 v13, v13, v35
	v_add_f16_e32 v31, v31, v35
	v_fma_f16 v35, v13, s5, v44
	v_fma_f16 v13, v13, s4, v44
	v_pack_b32_f16 v44, v55, v46
	v_pack_b32_f16 v4, v10, v4
	;; [unrolled: 1-line block ×4, first 2 shown]
	v_add_u32_e32 v11, 0xe00, v24
	ds_write2_b32 v24, v44, v7 offset1:90
	v_pack_b32_f16 v7, v37, v19
	ds_write2_b32 v11, v4, v10 offset0:64 offset1:154
	v_pack_b32_f16 v10, v39, v17
	v_pack_b32_f16 v4, v25, v38
	ds_write2_b32 v30, v7, v10 offset0:58 offset1:148
	v_pack_b32_f16 v7, v8, v14
	v_pack_b32_f16 v8, v28, v40
	v_add_f16_e32 v42, v42, v45
	ds_write2_b32 v34, v4, v8 offset0:52 offset1:142
	v_pack_b32_f16 v8, v9, v12
	v_pack_b32_f16 v18, v48, v18
	ds_write2_b32 v33, v7, v8 offset0:116 offset1:206
	v_pack_b32_f16 v7, v31, v42
	v_pack_b32_f16 v4, v41, v15
	ds_write2_b32 v29, v7, v18 offset0:104 offset1:224
	v_pack_b32_f16 v7, v43, v35
	ds_write2_b32 v32, v4, v7 offset0:110 offset1:200
	v_pack_b32_f16 v4, v6, v13
	ds_write_b32 v24, v4 offset:5280
	s_and_saveexec_b64 s[2:3], vcc
	s_cbranch_execz .LBB0_27
; %bb.26:
	v_subrev_u32_e32 v4, 30, v0
	v_cndmask_b32_e32 v1, v4, v1, vcc
	v_lshlrev_b32_e32 v4, 1, v1
	v_lshlrev_b64 v[4:5], 2, v[4:5]
	v_mov_b32_e32 v1, s9
	v_add_co_u32_e32 v4, vcc, s8, v4
	v_addc_co_u32_e32 v5, vcc, v1, v5, vcc
	global_load_dwordx2 v[4:5], v[4:5], off offset:1880
	s_waitcnt vmcnt(0)
	v_mul_f16_sdwa v1, v23, v5 dst_sel:DWORD dst_unused:UNUSED_PAD src0_sel:DWORD src1_sel:WORD_1
	v_mul_f16_sdwa v6, v22, v4 dst_sel:DWORD dst_unused:UNUSED_PAD src0_sel:DWORD src1_sel:WORD_1
	;; [unrolled: 1-line block ×4, first 2 shown]
	v_fma_f16 v1, v27, v5, -v1
	v_fma_f16 v6, v26, v4, -v6
	v_fma_f16 v4, v22, v4, v7
	v_fma_f16 v5, v23, v5, v8
	v_add_f16_e32 v7, v21, v6
	v_add_f16_e32 v8, v20, v4
	;; [unrolled: 1-line block ×3, first 2 shown]
	v_sub_f16_e32 v10, v4, v5
	v_add_f16_e32 v4, v4, v5
	v_sub_f16_e32 v6, v6, v1
	v_add_f16_e32 v1, v7, v1
	v_add_f16_e32 v5, v8, v5
	v_fma_f16 v7, v9, -0.5, v21
	v_fma_f16 v4, v4, -0.5, v20
	v_fma_f16 v8, v10, s4, v7
	v_fma_f16 v7, v10, s5, v7
	;; [unrolled: 1-line block ×4, first 2 shown]
	v_pack_b32_f16 v1, v5, v1
	ds_write_b32 v24, v1 offset:1800
	v_pack_b32_f16 v1, v4, v7
	v_pack_b32_f16 v4, v9, v8
	ds_write_b32 v24, v1 offset:3720
	ds_write_b32 v24, v4 offset:5640
.LBB0_27:
	s_or_b64 exec, exec, s[2:3]
	s_waitcnt lgkmcnt(0)
	s_barrier
	s_and_saveexec_b64 s[2:3], s[0:1]
	s_cbranch_execz .LBB0_29
; %bb.28:
	v_lshl_add_u32 v6, v0, 2, 0
	v_mov_b32_e32 v1, 0
	ds_read2_b32 v[4:5], v6 offset1:90
	v_mov_b32_e32 v7, s13
	v_add_co_u32_e32 v8, vcc, s12, v2
	v_addc_co_u32_e32 v7, vcc, v7, v3, vcc
	v_lshlrev_b64 v[2:3], 2, v[0:1]
	v_add_co_u32_e32 v2, vcc, v8, v2
	v_addc_co_u32_e32 v3, vcc, v7, v3, vcc
	s_waitcnt lgkmcnt(0)
	global_store_dword v[2:3], v4, off
	v_add_u32_e32 v2, 0x5a, v0
	v_mov_b32_e32 v3, v1
	v_lshlrev_b64 v[2:3], 2, v[2:3]
	v_add_u32_e32 v4, 0x200, v6
	v_add_co_u32_e32 v2, vcc, v8, v2
	v_addc_co_u32_e32 v3, vcc, v7, v3, vcc
	global_store_dword v[2:3], v5, off
	v_add_u32_e32 v2, 0xb4, v0
	v_mov_b32_e32 v3, v1
	ds_read2_b32 v[4:5], v4 offset0:52 offset1:142
	v_lshlrev_b64 v[2:3], 2, v[2:3]
	v_add_co_u32_e32 v2, vcc, v8, v2
	v_addc_co_u32_e32 v3, vcc, v7, v3, vcc
	s_waitcnt lgkmcnt(0)
	global_store_dword v[2:3], v4, off
	v_add_u32_e32 v2, 0x10e, v0
	v_mov_b32_e32 v3, v1
	v_lshlrev_b64 v[2:3], 2, v[2:3]
	v_add_u32_e32 v4, 0x400, v6
	v_add_co_u32_e32 v2, vcc, v8, v2
	v_addc_co_u32_e32 v3, vcc, v7, v3, vcc
	global_store_dword v[2:3], v5, off
	v_add_u32_e32 v2, 0x168, v0
	v_mov_b32_e32 v3, v1
	ds_read2_b32 v[4:5], v4 offset0:104 offset1:194
	;; [unrolled: 15-line block ×6, first 2 shown]
	v_lshlrev_b64 v[2:3], 2, v[2:3]
	v_add_co_u32_e32 v2, vcc, v8, v2
	v_addc_co_u32_e32 v3, vcc, v7, v3, vcc
	s_waitcnt lgkmcnt(0)
	global_store_dword v[2:3], v4, off
	v_add_u32_e32 v2, 0x492, v0
	v_mov_b32_e32 v3, v1
	v_lshlrev_b64 v[2:3], 2, v[2:3]
	v_add_u32_e32 v4, 0x1200, v6
	v_add_co_u32_e32 v2, vcc, v8, v2
	v_addc_co_u32_e32 v3, vcc, v7, v3, vcc
	global_store_dword v[2:3], v5, off
	v_add_u32_e32 v2, 0x4ec, v0
	v_mov_b32_e32 v3, v1
	v_lshlrev_b64 v[2:3], 2, v[2:3]
	ds_read2_b32 v[4:5], v4 offset0:108 offset1:198
	v_add_u32_e32 v0, 0x546, v0
	v_add_co_u32_e32 v2, vcc, v8, v2
	v_lshlrev_b64 v[0:1], 2, v[0:1]
	v_addc_co_u32_e32 v3, vcc, v7, v3, vcc
	v_add_co_u32_e32 v0, vcc, v8, v0
	v_addc_co_u32_e32 v1, vcc, v7, v1, vcc
	s_waitcnt lgkmcnt(0)
	global_store_dword v[2:3], v4, off
	global_store_dword v[0:1], v5, off
.LBB0_29:
	s_endpgm
	.section	.rodata,"a",@progbits
	.p2align	6, 0x0
	.amdhsa_kernel fft_rtc_back_len1440_factors_10_16_3_3_wgs_90_tpt_90_halfLds_half_ip_CI_unitstride_sbrr_C2R_dirReg
		.amdhsa_group_segment_fixed_size 0
		.amdhsa_private_segment_fixed_size 0
		.amdhsa_kernarg_size 88
		.amdhsa_user_sgpr_count 6
		.amdhsa_user_sgpr_private_segment_buffer 1
		.amdhsa_user_sgpr_dispatch_ptr 0
		.amdhsa_user_sgpr_queue_ptr 0
		.amdhsa_user_sgpr_kernarg_segment_ptr 1
		.amdhsa_user_sgpr_dispatch_id 0
		.amdhsa_user_sgpr_flat_scratch_init 0
		.amdhsa_user_sgpr_private_segment_size 0
		.amdhsa_uses_dynamic_stack 0
		.amdhsa_system_sgpr_private_segment_wavefront_offset 0
		.amdhsa_system_sgpr_workgroup_id_x 1
		.amdhsa_system_sgpr_workgroup_id_y 0
		.amdhsa_system_sgpr_workgroup_id_z 0
		.amdhsa_system_sgpr_workgroup_info 0
		.amdhsa_system_vgpr_workitem_id 0
		.amdhsa_next_free_vgpr 61
		.amdhsa_next_free_sgpr 22
		.amdhsa_reserve_vcc 1
		.amdhsa_reserve_flat_scratch 0
		.amdhsa_float_round_mode_32 0
		.amdhsa_float_round_mode_16_64 0
		.amdhsa_float_denorm_mode_32 3
		.amdhsa_float_denorm_mode_16_64 3
		.amdhsa_dx10_clamp 1
		.amdhsa_ieee_mode 1
		.amdhsa_fp16_overflow 0
		.amdhsa_exception_fp_ieee_invalid_op 0
		.amdhsa_exception_fp_denorm_src 0
		.amdhsa_exception_fp_ieee_div_zero 0
		.amdhsa_exception_fp_ieee_overflow 0
		.amdhsa_exception_fp_ieee_underflow 0
		.amdhsa_exception_fp_ieee_inexact 0
		.amdhsa_exception_int_div_zero 0
	.end_amdhsa_kernel
	.text
.Lfunc_end0:
	.size	fft_rtc_back_len1440_factors_10_16_3_3_wgs_90_tpt_90_halfLds_half_ip_CI_unitstride_sbrr_C2R_dirReg, .Lfunc_end0-fft_rtc_back_len1440_factors_10_16_3_3_wgs_90_tpt_90_halfLds_half_ip_CI_unitstride_sbrr_C2R_dirReg
                                        ; -- End function
	.section	.AMDGPU.csdata,"",@progbits
; Kernel info:
; codeLenInByte = 11600
; NumSgprs: 26
; NumVgprs: 61
; ScratchSize: 0
; MemoryBound: 0
; FloatMode: 240
; IeeeMode: 1
; LDSByteSize: 0 bytes/workgroup (compile time only)
; SGPRBlocks: 3
; VGPRBlocks: 15
; NumSGPRsForWavesPerEU: 26
; NumVGPRsForWavesPerEU: 61
; Occupancy: 4
; WaveLimiterHint : 1
; COMPUTE_PGM_RSRC2:SCRATCH_EN: 0
; COMPUTE_PGM_RSRC2:USER_SGPR: 6
; COMPUTE_PGM_RSRC2:TRAP_HANDLER: 0
; COMPUTE_PGM_RSRC2:TGID_X_EN: 1
; COMPUTE_PGM_RSRC2:TGID_Y_EN: 0
; COMPUTE_PGM_RSRC2:TGID_Z_EN: 0
; COMPUTE_PGM_RSRC2:TIDIG_COMP_CNT: 0
	.type	__hip_cuid_c10649715f9d0edf,@object ; @__hip_cuid_c10649715f9d0edf
	.section	.bss,"aw",@nobits
	.globl	__hip_cuid_c10649715f9d0edf
__hip_cuid_c10649715f9d0edf:
	.byte	0                               ; 0x0
	.size	__hip_cuid_c10649715f9d0edf, 1

	.ident	"AMD clang version 19.0.0git (https://github.com/RadeonOpenCompute/llvm-project roc-6.4.0 25133 c7fe45cf4b819c5991fe208aaa96edf142730f1d)"
	.section	".note.GNU-stack","",@progbits
	.addrsig
	.addrsig_sym __hip_cuid_c10649715f9d0edf
	.amdgpu_metadata
---
amdhsa.kernels:
  - .args:
      - .actual_access:  read_only
        .address_space:  global
        .offset:         0
        .size:           8
        .value_kind:     global_buffer
      - .offset:         8
        .size:           8
        .value_kind:     by_value
      - .actual_access:  read_only
        .address_space:  global
        .offset:         16
        .size:           8
        .value_kind:     global_buffer
      - .actual_access:  read_only
        .address_space:  global
        .offset:         24
        .size:           8
        .value_kind:     global_buffer
      - .offset:         32
        .size:           8
        .value_kind:     by_value
      - .actual_access:  read_only
        .address_space:  global
        .offset:         40
        .size:           8
        .value_kind:     global_buffer
      - .actual_access:  read_only
        .address_space:  global
        .offset:         48
        .size:           8
        .value_kind:     global_buffer
      - .offset:         56
        .size:           4
        .value_kind:     by_value
      - .actual_access:  read_only
        .address_space:  global
        .offset:         64
        .size:           8
        .value_kind:     global_buffer
      - .actual_access:  read_only
        .address_space:  global
        .offset:         72
        .size:           8
        .value_kind:     global_buffer
      - .address_space:  global
        .offset:         80
        .size:           8
        .value_kind:     global_buffer
    .group_segment_fixed_size: 0
    .kernarg_segment_align: 8
    .kernarg_segment_size: 88
    .language:       OpenCL C
    .language_version:
      - 2
      - 0
    .max_flat_workgroup_size: 90
    .name:           fft_rtc_back_len1440_factors_10_16_3_3_wgs_90_tpt_90_halfLds_half_ip_CI_unitstride_sbrr_C2R_dirReg
    .private_segment_fixed_size: 0
    .sgpr_count:     26
    .sgpr_spill_count: 0
    .symbol:         fft_rtc_back_len1440_factors_10_16_3_3_wgs_90_tpt_90_halfLds_half_ip_CI_unitstride_sbrr_C2R_dirReg.kd
    .uniform_work_group_size: 1
    .uses_dynamic_stack: false
    .vgpr_count:     61
    .vgpr_spill_count: 0
    .wavefront_size: 64
amdhsa.target:   amdgcn-amd-amdhsa--gfx906
amdhsa.version:
  - 1
  - 2
...

	.end_amdgpu_metadata
